;; amdgpu-corpus repo=ROCm/rocSPARSE kind=compiled arch=gfx90a opt=O3
	.text
	.amdgcn_target "amdgcn-amd-amdhsa--gfx90a"
	.amdhsa_code_object_version 6
	.section	.text._ZN9rocsparseL19check_row_ptr_arrayILj256EiiEEvT1_PKT0_P22rocsparse_data_status_,"axG",@progbits,_ZN9rocsparseL19check_row_ptr_arrayILj256EiiEEvT1_PKT0_P22rocsparse_data_status_,comdat
	.globl	_ZN9rocsparseL19check_row_ptr_arrayILj256EiiEEvT1_PKT0_P22rocsparse_data_status_ ; -- Begin function _ZN9rocsparseL19check_row_ptr_arrayILj256EiiEEvT1_PKT0_P22rocsparse_data_status_
	.p2align	8
	.type	_ZN9rocsparseL19check_row_ptr_arrayILj256EiiEEvT1_PKT0_P22rocsparse_data_status_,@function
_ZN9rocsparseL19check_row_ptr_arrayILj256EiiEEvT1_PKT0_P22rocsparse_data_status_: ; @_ZN9rocsparseL19check_row_ptr_arrayILj256EiiEEvT1_PKT0_P22rocsparse_data_status_
; %bb.0:
	s_load_dword s0, s[4:5], 0x0
	v_lshl_or_b32 v0, s6, 8, v0
	s_waitcnt lgkmcnt(0)
	v_cmp_gt_i32_e32 vcc, s0, v0
	s_and_saveexec_b64 s[0:1], vcc
	s_cbranch_execz .LBB0_3
; %bb.1:
	s_load_dwordx2 s[0:1], s[4:5], 0x8
	v_ashrrev_i32_e32 v1, 31, v0
	v_lshlrev_b64 v[0:1], 2, v[0:1]
	s_waitcnt lgkmcnt(0)
	v_mov_b32_e32 v2, s1
	v_add_co_u32_e32 v0, vcc, s0, v0
	v_addc_co_u32_e32 v1, vcc, v2, v1, vcc
	global_load_dwordx2 v[0:1], v[0:1], off
	s_load_dword s0, s[0:1], 0x0
	s_waitcnt vmcnt(0) lgkmcnt(0)
	v_cmp_gt_i32_e32 vcc, s0, v0
	v_max_i32_e32 v0, s0, v0
	v_cmp_gt_i32_e64 s[0:1], v0, v1
	s_or_b64 s[0:1], vcc, s[0:1]
	s_and_b64 exec, exec, s[0:1]
	s_cbranch_execz .LBB0_3
; %bb.2:
	s_load_dwordx2 s[0:1], s[4:5], 0x10
	v_mov_b32_e32 v0, 0
	v_mov_b32_e32 v1, 3
	s_waitcnt lgkmcnt(0)
	global_store_dword v0, v1, s[0:1]
.LBB0_3:
	s_endpgm
	.section	.rodata,"a",@progbits
	.p2align	6, 0x0
	.amdhsa_kernel _ZN9rocsparseL19check_row_ptr_arrayILj256EiiEEvT1_PKT0_P22rocsparse_data_status_
		.amdhsa_group_segment_fixed_size 0
		.amdhsa_private_segment_fixed_size 0
		.amdhsa_kernarg_size 24
		.amdhsa_user_sgpr_count 6
		.amdhsa_user_sgpr_private_segment_buffer 1
		.amdhsa_user_sgpr_dispatch_ptr 0
		.amdhsa_user_sgpr_queue_ptr 0
		.amdhsa_user_sgpr_kernarg_segment_ptr 1
		.amdhsa_user_sgpr_dispatch_id 0
		.amdhsa_user_sgpr_flat_scratch_init 0
		.amdhsa_user_sgpr_kernarg_preload_length 0
		.amdhsa_user_sgpr_kernarg_preload_offset 0
		.amdhsa_user_sgpr_private_segment_size 0
		.amdhsa_uses_dynamic_stack 0
		.amdhsa_system_sgpr_private_segment_wavefront_offset 0
		.amdhsa_system_sgpr_workgroup_id_x 1
		.amdhsa_system_sgpr_workgroup_id_y 0
		.amdhsa_system_sgpr_workgroup_id_z 0
		.amdhsa_system_sgpr_workgroup_info 0
		.amdhsa_system_vgpr_workitem_id 0
		.amdhsa_next_free_vgpr 3
		.amdhsa_next_free_sgpr 7
		.amdhsa_accum_offset 4
		.amdhsa_reserve_vcc 1
		.amdhsa_reserve_flat_scratch 0
		.amdhsa_float_round_mode_32 0
		.amdhsa_float_round_mode_16_64 0
		.amdhsa_float_denorm_mode_32 3
		.amdhsa_float_denorm_mode_16_64 3
		.amdhsa_dx10_clamp 1
		.amdhsa_ieee_mode 1
		.amdhsa_fp16_overflow 0
		.amdhsa_tg_split 0
		.amdhsa_exception_fp_ieee_invalid_op 0
		.amdhsa_exception_fp_denorm_src 0
		.amdhsa_exception_fp_ieee_div_zero 0
		.amdhsa_exception_fp_ieee_overflow 0
		.amdhsa_exception_fp_ieee_underflow 0
		.amdhsa_exception_fp_ieee_inexact 0
		.amdhsa_exception_int_div_zero 0
	.end_amdhsa_kernel
	.section	.text._ZN9rocsparseL19check_row_ptr_arrayILj256EiiEEvT1_PKT0_P22rocsparse_data_status_,"axG",@progbits,_ZN9rocsparseL19check_row_ptr_arrayILj256EiiEEvT1_PKT0_P22rocsparse_data_status_,comdat
.Lfunc_end0:
	.size	_ZN9rocsparseL19check_row_ptr_arrayILj256EiiEEvT1_PKT0_P22rocsparse_data_status_, .Lfunc_end0-_ZN9rocsparseL19check_row_ptr_arrayILj256EiiEEvT1_PKT0_P22rocsparse_data_status_
                                        ; -- End function
	.section	.AMDGPU.csdata,"",@progbits
; Kernel info:
; codeLenInByte = 148
; NumSgprs: 11
; NumVgprs: 3
; NumAgprs: 0
; TotalNumVgprs: 3
; ScratchSize: 0
; MemoryBound: 0
; FloatMode: 240
; IeeeMode: 1
; LDSByteSize: 0 bytes/workgroup (compile time only)
; SGPRBlocks: 1
; VGPRBlocks: 0
; NumSGPRsForWavesPerEU: 11
; NumVGPRsForWavesPerEU: 3
; AccumOffset: 4
; Occupancy: 8
; WaveLimiterHint : 0
; COMPUTE_PGM_RSRC2:SCRATCH_EN: 0
; COMPUTE_PGM_RSRC2:USER_SGPR: 6
; COMPUTE_PGM_RSRC2:TRAP_HANDLER: 0
; COMPUTE_PGM_RSRC2:TGID_X_EN: 1
; COMPUTE_PGM_RSRC2:TGID_Y_EN: 0
; COMPUTE_PGM_RSRC2:TGID_Z_EN: 0
; COMPUTE_PGM_RSRC2:TIDIG_COMP_CNT: 0
; COMPUTE_PGM_RSRC3_GFX90A:ACCUM_OFFSET: 0
; COMPUTE_PGM_RSRC3_GFX90A:TG_SPLIT: 0
	.section	.text._ZN9rocsparseL20shift_offsets_kernelILj512EiiEEvT1_PKT0_PS2_,"axG",@progbits,_ZN9rocsparseL20shift_offsets_kernelILj512EiiEEvT1_PKT0_PS2_,comdat
	.globl	_ZN9rocsparseL20shift_offsets_kernelILj512EiiEEvT1_PKT0_PS2_ ; -- Begin function _ZN9rocsparseL20shift_offsets_kernelILj512EiiEEvT1_PKT0_PS2_
	.p2align	8
	.type	_ZN9rocsparseL20shift_offsets_kernelILj512EiiEEvT1_PKT0_PS2_,@function
_ZN9rocsparseL20shift_offsets_kernelILj512EiiEEvT1_PKT0_PS2_: ; @_ZN9rocsparseL20shift_offsets_kernelILj512EiiEEvT1_PKT0_PS2_
; %bb.0:
	s_load_dword s0, s[4:5], 0x0
	v_lshl_or_b32 v0, s6, 9, v0
	s_waitcnt lgkmcnt(0)
	v_cmp_gt_i32_e32 vcc, s0, v0
	s_and_saveexec_b64 s[0:1], vcc
	s_cbranch_execz .LBB1_2
; %bb.1:
	s_load_dwordx4 s[0:3], s[4:5], 0x8
	v_ashrrev_i32_e32 v1, 31, v0
	v_lshlrev_b64 v[0:1], 2, v[0:1]
	s_waitcnt lgkmcnt(0)
	v_mov_b32_e32 v3, s1
	v_add_co_u32_e32 v2, vcc, s0, v0
	v_addc_co_u32_e32 v3, vcc, v3, v1, vcc
	global_load_dword v2, v[2:3], off
	s_load_dword s0, s[0:1], 0x0
	v_mov_b32_e32 v3, s3
	v_add_co_u32_e32 v0, vcc, s2, v0
	v_addc_co_u32_e32 v1, vcc, v3, v1, vcc
	s_waitcnt vmcnt(0) lgkmcnt(0)
	v_subrev_u32_e32 v2, s0, v2
	global_store_dword v[0:1], v2, off
.LBB1_2:
	s_endpgm
	.section	.rodata,"a",@progbits
	.p2align	6, 0x0
	.amdhsa_kernel _ZN9rocsparseL20shift_offsets_kernelILj512EiiEEvT1_PKT0_PS2_
		.amdhsa_group_segment_fixed_size 0
		.amdhsa_private_segment_fixed_size 0
		.amdhsa_kernarg_size 24
		.amdhsa_user_sgpr_count 6
		.amdhsa_user_sgpr_private_segment_buffer 1
		.amdhsa_user_sgpr_dispatch_ptr 0
		.amdhsa_user_sgpr_queue_ptr 0
		.amdhsa_user_sgpr_kernarg_segment_ptr 1
		.amdhsa_user_sgpr_dispatch_id 0
		.amdhsa_user_sgpr_flat_scratch_init 0
		.amdhsa_user_sgpr_kernarg_preload_length 0
		.amdhsa_user_sgpr_kernarg_preload_offset 0
		.amdhsa_user_sgpr_private_segment_size 0
		.amdhsa_uses_dynamic_stack 0
		.amdhsa_system_sgpr_private_segment_wavefront_offset 0
		.amdhsa_system_sgpr_workgroup_id_x 1
		.amdhsa_system_sgpr_workgroup_id_y 0
		.amdhsa_system_sgpr_workgroup_id_z 0
		.amdhsa_system_sgpr_workgroup_info 0
		.amdhsa_system_vgpr_workitem_id 0
		.amdhsa_next_free_vgpr 4
		.amdhsa_next_free_sgpr 7
		.amdhsa_accum_offset 4
		.amdhsa_reserve_vcc 1
		.amdhsa_reserve_flat_scratch 0
		.amdhsa_float_round_mode_32 0
		.amdhsa_float_round_mode_16_64 0
		.amdhsa_float_denorm_mode_32 3
		.amdhsa_float_denorm_mode_16_64 3
		.amdhsa_dx10_clamp 1
		.amdhsa_ieee_mode 1
		.amdhsa_fp16_overflow 0
		.amdhsa_tg_split 0
		.amdhsa_exception_fp_ieee_invalid_op 0
		.amdhsa_exception_fp_denorm_src 0
		.amdhsa_exception_fp_ieee_div_zero 0
		.amdhsa_exception_fp_ieee_overflow 0
		.amdhsa_exception_fp_ieee_underflow 0
		.amdhsa_exception_fp_ieee_inexact 0
		.amdhsa_exception_int_div_zero 0
	.end_amdhsa_kernel
	.section	.text._ZN9rocsparseL20shift_offsets_kernelILj512EiiEEvT1_PKT0_PS2_,"axG",@progbits,_ZN9rocsparseL20shift_offsets_kernelILj512EiiEEvT1_PKT0_PS2_,comdat
.Lfunc_end1:
	.size	_ZN9rocsparseL20shift_offsets_kernelILj512EiiEEvT1_PKT0_PS2_, .Lfunc_end1-_ZN9rocsparseL20shift_offsets_kernelILj512EiiEEvT1_PKT0_PS2_
                                        ; -- End function
	.section	.AMDGPU.csdata,"",@progbits
; Kernel info:
; codeLenInByte = 116
; NumSgprs: 11
; NumVgprs: 4
; NumAgprs: 0
; TotalNumVgprs: 4
; ScratchSize: 0
; MemoryBound: 0
; FloatMode: 240
; IeeeMode: 1
; LDSByteSize: 0 bytes/workgroup (compile time only)
; SGPRBlocks: 1
; VGPRBlocks: 0
; NumSGPRsForWavesPerEU: 11
; NumVGPRsForWavesPerEU: 4
; AccumOffset: 4
; Occupancy: 8
; WaveLimiterHint : 0
; COMPUTE_PGM_RSRC2:SCRATCH_EN: 0
; COMPUTE_PGM_RSRC2:USER_SGPR: 6
; COMPUTE_PGM_RSRC2:TRAP_HANDLER: 0
; COMPUTE_PGM_RSRC2:TGID_X_EN: 1
; COMPUTE_PGM_RSRC2:TGID_Y_EN: 0
; COMPUTE_PGM_RSRC2:TGID_Z_EN: 0
; COMPUTE_PGM_RSRC2:TIDIG_COMP_CNT: 0
; COMPUTE_PGM_RSRC3_GFX90A:ACCUM_OFFSET: 0
; COMPUTE_PGM_RSRC3_GFX90A:TG_SPLIT: 0
	.section	.text._ZN9rocsparseL25check_matrix_gebsr_deviceILj256EfiiEEv20rocsparse_direction_T2_S2_T1_S2_S2_PKT0_PKS3_PKS2_SA_21rocsparse_index_base_22rocsparse_matrix_type_20rocsparse_fill_mode_23rocsparse_storage_mode_P22rocsparse_data_status_,"axG",@progbits,_ZN9rocsparseL25check_matrix_gebsr_deviceILj256EfiiEEv20rocsparse_direction_T2_S2_T1_S2_S2_PKT0_PKS3_PKS2_SA_21rocsparse_index_base_22rocsparse_matrix_type_20rocsparse_fill_mode_23rocsparse_storage_mode_P22rocsparse_data_status_,comdat
	.globl	_ZN9rocsparseL25check_matrix_gebsr_deviceILj256EfiiEEv20rocsparse_direction_T2_S2_T1_S2_S2_PKT0_PKS3_PKS2_SA_21rocsparse_index_base_22rocsparse_matrix_type_20rocsparse_fill_mode_23rocsparse_storage_mode_P22rocsparse_data_status_ ; -- Begin function _ZN9rocsparseL25check_matrix_gebsr_deviceILj256EfiiEEv20rocsparse_direction_T2_S2_T1_S2_S2_PKT0_PKS3_PKS2_SA_21rocsparse_index_base_22rocsparse_matrix_type_20rocsparse_fill_mode_23rocsparse_storage_mode_P22rocsparse_data_status_
	.p2align	8
	.type	_ZN9rocsparseL25check_matrix_gebsr_deviceILj256EfiiEEv20rocsparse_direction_T2_S2_T1_S2_S2_PKT0_PKS3_PKS2_SA_21rocsparse_index_base_22rocsparse_matrix_type_20rocsparse_fill_mode_23rocsparse_storage_mode_P22rocsparse_data_status_,@function
_ZN9rocsparseL25check_matrix_gebsr_deviceILj256EfiiEEv20rocsparse_direction_T2_S2_T1_S2_S2_PKT0_PKS3_PKS2_SA_21rocsparse_index_base_22rocsparse_matrix_type_20rocsparse_fill_mode_23rocsparse_storage_mode_P22rocsparse_data_status_: ; @_ZN9rocsparseL25check_matrix_gebsr_deviceILj256EfiiEEv20rocsparse_direction_T2_S2_T1_S2_S2_PKT0_PKS3_PKS2_SA_21rocsparse_index_base_22rocsparse_matrix_type_20rocsparse_fill_mode_23rocsparse_storage_mode_P22rocsparse_data_status_
; %bb.0:
	s_load_dwordx4 s[16:19], s[4:5], 0x0
	v_lshl_or_b32 v0, s6, 8, v0
	s_waitcnt lgkmcnt(0)
	v_cmp_gt_i32_e32 vcc, s17, v0
	s_and_saveexec_b64 s[0:1], vcc
	s_cbranch_execz .LBB2_63
; %bb.1:
	s_load_dwordx2 s[0:1], s[4:5], 0x20
	v_ashrrev_i32_e32 v1, 31, v0
	v_lshlrev_b64 v[2:3], 2, v[0:1]
	s_mov_b64 s[6:7], -1
	v_mov_b32_e32 v14, 3
	s_waitcnt lgkmcnt(0)
	v_mov_b32_e32 v1, s1
	v_add_co_u32_e32 v2, vcc, s0, v2
	v_addc_co_u32_e32 v3, vcc, v1, v3, vcc
	global_load_dwordx2 v[2:3], v[2:3], off
	s_load_dword s0, s[0:1], 0x0
	s_waitcnt vmcnt(0) lgkmcnt(0)
	v_subrev_u32_e32 v11, s0, v3
	v_cmp_lt_i32_e32 vcc, v3, v2
	v_cmp_gt_i32_e64 s[2:3], 0, v11
	v_subrev_u32_e32 v10, s0, v2
	s_or_b64 s[2:3], s[2:3], vcc
	v_cmp_lt_i32_e64 s[0:1], -1, v10
	s_xor_b64 s[2:3], s[2:3], -1
	s_and_b64 s[0:1], s[0:1], s[2:3]
	s_and_saveexec_b64 s[24:25], s[0:1]
	s_cbranch_execz .LBB2_61
; %bb.2:
	v_cmp_lt_i32_e32 vcc, v2, v3
	s_mov_b64 s[0:1], 0
	v_mov_b32_e32 v14, 3
	s_and_saveexec_b64 s[26:27], vcc
	s_cbranch_execz .LBB2_60
; %bb.3:
	s_load_dwordx4 s[20:23], s[4:5], 0x10
	s_load_dwordx8 s[8:15], s[4:5], 0x28
	s_cmp_lg_u32 s16, 0
	s_cselect_b64 s[28:29], -1, 0
	s_mov_b32 s17, 0
	s_waitcnt lgkmcnt(0)
	s_mul_i32 s0, s21, s20
	s_cmp_gt_i32 s21, 0
	v_mad_u64_u32 v[2:3], s[2:3], s0, v10, 0
	s_cselect_b64 s[30:31], -1, 0
	s_cmp_gt_i32 s20, 0
	s_mul_hi_i32 s1, s21, s20
	v_mov_b32_e32 v4, v3
	s_cselect_b64 s[34:35], -1, 0
	s_cmp_lg_u32 s13, 0
	v_mad_u64_u32 v[4:5], s[2:3], s1, v10, v[4:5]
	s_cselect_b64 s[36:37], -1, 0
	s_cmp_lg_u32 s14, 0
	v_mov_b32_e32 v3, v4
	s_cselect_b64 s[38:39], -1, 0
	s_cmp_lg_u32 s15, 0
	v_lshlrev_b64 v[2:3], 2, v[2:3]
	s_cselect_b64 s[14:15], -1, 0
	s_add_u32 s13, s10, -4
	v_mov_b32_e32 v1, s23
	v_add_co_u32_e32 v2, vcc, s22, v2
	v_cndmask_b32_e64 v4, 0, 1, s[34:35]
	s_addc_u32 s19, s11, -1
	v_addc_co_u32_e32 v1, vcc, v1, v3, vcc
	s_lshl_b64 s[22:23], s[0:1], 2
	s_mov_b64 s[10:11], 0
	v_mov_b32_e32 v5, 0
	v_mov_b32_e32 v3, s9
	s_mov_b32 s9, 0x7f800000
	v_cmp_ne_u32_e64 s[0:1], 1, v4
	v_mov_b32_e32 v4, v10
                                        ; implicit-def: $sgpr40_sgpr41
                                        ; implicit-def: $sgpr42_sgpr43
                                        ; implicit-def: $sgpr44_sgpr45
	s_branch .LBB2_9
.LBB2_4:                                ;   in Loop: Header=BB2_9 Depth=1
	s_or_b64 exec, exec, s[6:7]
	s_andn2_b64 s[6:7], s[56:57], exec
	s_and_b64 s[52:53], s[52:53], exec
	s_or_b64 s[56:57], s[6:7], s[52:53]
	s_orn2_b64 s[2:3], s[2:3], exec
.LBB2_5:                                ;   in Loop: Header=BB2_9 Depth=1
	s_or_b64 exec, exec, s[58:59]
	s_andn2_b64 s[6:7], s[50:51], exec
	s_and_b64 s[50:51], s[56:57], exec
	s_or_b64 s[50:51], s[6:7], s[50:51]
	s_orn2_b64 s[6:7], s[2:3], exec
.LBB2_6:                                ;   in Loop: Header=BB2_9 Depth=1
	s_or_b64 exec, exec, s[54:55]
	s_orn2_b64 s[50:51], s[50:51], exec
	s_orn2_b64 s[2:3], s[6:7], exec
.LBB2_7:                                ;   in Loop: Header=BB2_9 Depth=1
	s_or_b64 exec, exec, s[48:49]
	s_andn2_b64 s[6:7], s[44:45], exec
	s_and_b64 s[44:45], s[50:51], exec
	s_or_b64 s[44:45], s[6:7], s[44:45]
	s_andn2_b64 s[6:7], s[42:43], exec
	s_and_b64 s[2:3], s[2:3], exec
	s_or_b64 s[42:43], s[6:7], s[2:3]
.LBB2_8:                                ;   in Loop: Header=BB2_9 Depth=1
	s_or_b64 exec, exec, s[46:47]
	s_and_b64 s[2:3], exec, s[42:43]
	s_or_b64 s[10:11], s[2:3], s[10:11]
	s_andn2_b64 s[2:3], s[40:41], exec
	s_and_b64 s[6:7], s[44:45], exec
	s_or_b64 s[40:41], s[2:3], s[6:7]
	s_andn2_b64 exec, exec, s[10:11]
	s_cbranch_execz .LBB2_59
.LBB2_9:                                ; =>This Loop Header: Depth=1
                                        ;     Child Loop BB2_34 Depth 2
                                        ;       Child Loop BB2_38 Depth 3
                                        ;     Child Loop BB2_17 Depth 2
                                        ;       Child Loop BB2_21 Depth 3
	v_lshlrev_b64 v[8:9], 2, v[4:5]
	v_add_co_u32_e32 v6, vcc, s8, v8
	v_addc_co_u32_e32 v7, vcc, v3, v9, vcc
	global_load_dword v12, v[6:7], off
	v_mov_b32_e32 v14, 4
	s_or_b64 s[44:45], s[44:45], exec
	s_or_b64 s[42:43], s[42:43], exec
	s_waitcnt vmcnt(0)
	v_subrev_u32_e32 v13, s12, v12
	v_cmp_lt_i32_e32 vcc, -1, v13
	v_cmp_gt_i32_e64 s[2:3], s18, v13
	s_and_b64 s[2:3], vcc, s[2:3]
	s_and_saveexec_b64 s[46:47], s[2:3]
	s_cbranch_execz .LBB2_8
; %bb.10:                               ;   in Loop: Header=BB2_9 Depth=1
	v_cmp_le_i32_e64 s[52:53], v4, v10
	v_cmp_gt_i32_e32 vcc, v4, v10
	v_mov_b32_e32 v14, 4
	s_mov_b64 s[6:7], s[52:53]
	s_and_saveexec_b64 s[48:49], vcc
	s_cbranch_execz .LBB2_12
; %bb.11:                               ;   in Loop: Header=BB2_9 Depth=1
	v_mov_b32_e32 v14, s19
	v_add_co_u32_e32 v8, vcc, s13, v8
	v_addc_co_u32_e32 v9, vcc, v14, v9, vcc
	global_load_dwordx2 v[8:9], v[8:9], off
	v_mov_b32_e32 v14, 5
	s_waitcnt vmcnt(0)
	v_subrev_u32_e32 v15, s12, v8
	v_cmp_lt_i32_e64 s[2:3], -1, v15
	v_cmp_gt_i32_e64 s[6:7], s18, v15
	s_and_b64 s[2:3], s[2:3], s[6:7]
	v_cmp_ne_u32_e32 vcc, v9, v8
	s_xor_b64 s[2:3], s[2:3], -1
	s_or_b64 s[2:3], vcc, s[2:3]
	s_andn2_b64 s[6:7], s[52:53], exec
	s_and_b64 s[2:3], s[2:3], exec
	s_or_b64 s[6:7], s[6:7], s[2:3]
.LBB2_12:                               ;   in Loop: Header=BB2_9 Depth=1
	s_or_b64 exec, exec, s[48:49]
	s_mov_b64 s[2:3], -1
	s_mov_b64 s[50:51], -1
	s_and_saveexec_b64 s[48:49], s[6:7]
	s_cbranch_execz .LBB2_7
; %bb.13:                               ;   in Loop: Header=BB2_9 Depth=1
	s_and_b64 vcc, exec, s[28:29]
	s_cbranch_vccz .LBB2_30
; %bb.14:                               ;   in Loop: Header=BB2_9 Depth=1
	s_and_b64 vcc, exec, s[30:31]
	s_cbranch_vccz .LBB2_29
; %bb.15:                               ;   in Loop: Header=BB2_9 Depth=1
	s_mov_b32 s16, 0
	s_mov_b64 s[6:7], 0
	s_mov_b32 s33, s16
                                        ; implicit-def: $sgpr2_sgpr3
                                        ; implicit-def: $sgpr50_sgpr51
                                        ; implicit-def: $sgpr54_sgpr55
	s_branch .LBB2_17
.LBB2_16:                               ;   in Loop: Header=BB2_17 Depth=2
	s_or_b64 exec, exec, s[62:63]
	s_xor_b64 s[58:59], s[58:59], -1
	s_and_b64 s[56:57], exec, s[56:57]
	s_or_b64 s[6:7], s[56:57], s[6:7]
	s_andn2_b64 s[50:51], s[50:51], exec
	s_and_b64 s[56:57], s[54:55], exec
	s_or_b64 s[50:51], s[50:51], s[56:57]
	s_andn2_b64 s[2:3], s[2:3], exec
	s_and_b64 s[56:57], s[58:59], exec
	s_or_b64 s[2:3], s[2:3], s[56:57]
	s_andn2_b64 exec, exec, s[6:7]
	s_cbranch_execz .LBB2_28
.LBB2_17:                               ;   Parent Loop BB2_9 Depth=1
                                        ; =>  This Loop Header: Depth=2
                                        ;       Child Loop BB2_21 Depth 3
	s_and_b64 vcc, exec, s[0:1]
	s_mov_b64 s[56:57], -1
	s_cbranch_vccnz .LBB2_25
; %bb.18:                               ;   in Loop: Header=BB2_17 Depth=2
	s_lshl_b64 s[58:59], s[16:17], 2
	v_mov_b32_e32 v9, s59
	v_add_co_u32_e32 v8, vcc, s58, v2
	v_addc_co_u32_e32 v9, vcc, v1, v9, vcc
	s_mov_b64 s[62:63], 0
	s_mov_b32 s78, s20
                                        ; implicit-def: $sgpr60_sgpr61
                                        ; implicit-def: $sgpr58_sgpr59
                                        ; implicit-def: $sgpr64_sgpr65
                                        ; implicit-def: $sgpr66_sgpr67
	s_branch .LBB2_21
.LBB2_19:                               ;   in Loop: Header=BB2_21 Depth=3
	s_or_b64 exec, exec, s[76:77]
	s_andn2_b64 s[66:67], s[66:67], exec
	s_and_b64 s[74:75], s[74:75], exec
	s_andn2_b64 s[64:65], s[64:65], exec
	s_and_b64 s[72:73], s[72:73], exec
	v_mov_b32_e32 v14, 2
	s_or_b64 s[66:67], s[66:67], s[74:75]
	s_or_b64 s[64:65], s[64:65], s[72:73]
.LBB2_20:                               ;   in Loop: Header=BB2_21 Depth=3
	s_or_b64 exec, exec, s[70:71]
	s_xor_b64 s[70:71], s[66:67], -1
	s_and_b64 s[72:73], exec, s[64:65]
	s_or_b64 s[62:63], s[72:73], s[62:63]
	s_andn2_b64 s[58:59], s[58:59], exec
	s_and_b64 s[68:69], s[68:69], exec
	s_or_b64 s[58:59], s[58:59], s[68:69]
	s_andn2_b64 s[60:61], s[60:61], exec
	s_and_b64 s[68:69], s[70:71], exec
	s_or_b64 s[60:61], s[60:61], s[68:69]
	s_andn2_b64 exec, exec, s[62:63]
	s_cbranch_execz .LBB2_24
.LBB2_21:                               ;   Parent Loop BB2_9 Depth=1
                                        ;     Parent Loop BB2_17 Depth=2
                                        ; =>    This Inner Loop Header: Depth=3
	global_load_dword v15, v[8:9], off
	s_mov_b64 s[68:69], -1
	v_mov_b32_e32 v14, 1
	s_or_b64 s[66:67], s[66:67], exec
	s_or_b64 s[64:65], s[64:65], exec
	s_waitcnt vmcnt(0)
	v_cmp_neq_f32_e32 vcc, s9, v15
	s_and_saveexec_b64 s[70:71], vcc
	s_xor_b64 s[70:71], exec, s[70:71]
	s_cbranch_execz .LBB2_20
; %bb.22:                               ;   in Loop: Header=BB2_21 Depth=3
	v_cmp_o_f32_e32 vcc, v15, v15
	s_mov_b64 s[72:73], -1
	s_mov_b64 s[74:75], -1
	s_and_saveexec_b64 s[76:77], vcc
	s_cbranch_execz .LBB2_19
; %bb.23:                               ;   in Loop: Header=BB2_21 Depth=3
	s_add_i32 s78, s78, -1
	s_cmp_eq_u32 s78, 0
	v_add_co_u32_e32 v8, vcc, 4, v8
	s_cselect_b64 s[72:73], -1, 0
	v_addc_co_u32_e32 v9, vcc, 0, v9, vcc
	s_xor_b64 s[74:75], exec, -1
	s_orn2_b64 s[72:73], s[72:73], exec
	s_branch .LBB2_19
.LBB2_24:                               ;   in Loop: Header=BB2_17 Depth=2
	s_or_b64 exec, exec, s[62:63]
	s_branch .LBB2_26
.LBB2_25:                               ;   in Loop: Header=BB2_17 Depth=2
	s_mov_b64 s[60:61], -1
                                        ; implicit-def: $sgpr58_sgpr59
                                        ; implicit-def: $vgpr14
.LBB2_26:                               ;   in Loop: Header=BB2_17 Depth=2
	s_andn2_b64 s[54:55], s[54:55], exec
	s_and_b64 s[62:63], s[58:59], exec
	s_or_b64 s[54:55], s[54:55], s[62:63]
	s_and_saveexec_b64 s[62:63], s[60:61]
	s_cbranch_execz .LBB2_16
; %bb.27:                               ;   in Loop: Header=BB2_17 Depth=2
	s_add_i32 s33, s33, 1
	s_add_i32 s16, s16, s20
	s_cmp_eq_u32 s33, s21
	s_cselect_b64 s[56:57], -1, 0
	s_andn2_b64 s[58:59], s[58:59], exec
	s_andn2_b64 s[54:55], s[54:55], exec
	s_orn2_b64 s[56:57], s[56:57], exec
                                        ; implicit-def: $vgpr14
	s_branch .LBB2_16
.LBB2_28:                               ;   in Loop: Header=BB2_9 Depth=1
	s_or_b64 exec, exec, s[6:7]
.LBB2_29:                               ;   in Loop: Header=BB2_9 Depth=1
	s_branch .LBB2_46
.LBB2_30:                               ;   in Loop: Header=BB2_9 Depth=1
	s_mov_b64 s[2:3], 0
	s_cbranch_execz .LBB2_46
; %bb.31:                               ;   in Loop: Header=BB2_9 Depth=1
	s_and_b64 vcc, exec, s[34:35]
	s_cbranch_vccz .LBB2_50
; %bb.32:                               ;   in Loop: Header=BB2_9 Depth=1
	s_mov_b32 s16, 0
	s_mov_b64 s[6:7], 0
	s_mov_b32 s33, s16
                                        ; implicit-def: $sgpr2_sgpr3
                                        ; implicit-def: $sgpr50_sgpr51
                                        ; implicit-def: $sgpr54_sgpr55
	s_branch .LBB2_34
.LBB2_33:                               ;   in Loop: Header=BB2_34 Depth=2
	s_or_b64 exec, exec, s[62:63]
	s_xor_b64 s[58:59], s[58:59], -1
	s_and_b64 s[56:57], exec, s[56:57]
	s_or_b64 s[6:7], s[56:57], s[6:7]
	s_andn2_b64 s[50:51], s[50:51], exec
	s_and_b64 s[56:57], s[54:55], exec
	s_or_b64 s[50:51], s[50:51], s[56:57]
	s_andn2_b64 s[2:3], s[2:3], exec
	s_and_b64 s[56:57], s[58:59], exec
	s_or_b64 s[2:3], s[2:3], s[56:57]
	s_andn2_b64 exec, exec, s[6:7]
	s_cbranch_execz .LBB2_45
.LBB2_34:                               ;   Parent Loop BB2_9 Depth=1
                                        ; =>  This Loop Header: Depth=2
                                        ;       Child Loop BB2_38 Depth 3
	s_andn2_b64 vcc, exec, s[30:31]
	s_mov_b64 s[56:57], -1
	s_cbranch_vccnz .LBB2_42
; %bb.35:                               ;   in Loop: Header=BB2_34 Depth=2
	s_lshl_b64 s[58:59], s[16:17], 2
	v_mov_b32_e32 v9, s59
	v_add_co_u32_e32 v8, vcc, s58, v2
	v_addc_co_u32_e32 v9, vcc, v1, v9, vcc
	s_mov_b64 s[62:63], 0
	s_mov_b32 s78, s21
                                        ; implicit-def: $sgpr60_sgpr61
                                        ; implicit-def: $sgpr58_sgpr59
                                        ; implicit-def: $sgpr64_sgpr65
                                        ; implicit-def: $sgpr66_sgpr67
	s_branch .LBB2_38
.LBB2_36:                               ;   in Loop: Header=BB2_38 Depth=3
	s_or_b64 exec, exec, s[76:77]
	s_andn2_b64 s[66:67], s[66:67], exec
	s_and_b64 s[74:75], s[74:75], exec
	s_andn2_b64 s[64:65], s[64:65], exec
	s_and_b64 s[72:73], s[72:73], exec
	v_mov_b32_e32 v14, 2
	s_or_b64 s[66:67], s[66:67], s[74:75]
	s_or_b64 s[64:65], s[64:65], s[72:73]
.LBB2_37:                               ;   in Loop: Header=BB2_38 Depth=3
	s_or_b64 exec, exec, s[70:71]
	s_xor_b64 s[70:71], s[66:67], -1
	s_and_b64 s[72:73], exec, s[64:65]
	s_or_b64 s[62:63], s[72:73], s[62:63]
	s_andn2_b64 s[58:59], s[58:59], exec
	s_and_b64 s[68:69], s[68:69], exec
	s_or_b64 s[58:59], s[58:59], s[68:69]
	s_andn2_b64 s[60:61], s[60:61], exec
	s_and_b64 s[68:69], s[70:71], exec
	s_or_b64 s[60:61], s[60:61], s[68:69]
	s_andn2_b64 exec, exec, s[62:63]
	s_cbranch_execz .LBB2_41
.LBB2_38:                               ;   Parent Loop BB2_9 Depth=1
                                        ;     Parent Loop BB2_34 Depth=2
                                        ; =>    This Inner Loop Header: Depth=3
	global_load_dword v15, v[8:9], off
	s_mov_b64 s[68:69], -1
	v_mov_b32_e32 v14, 1
	s_or_b64 s[66:67], s[66:67], exec
	s_or_b64 s[64:65], s[64:65], exec
	s_waitcnt vmcnt(0)
	v_cmp_neq_f32_e32 vcc, s9, v15
	s_and_saveexec_b64 s[70:71], vcc
	s_xor_b64 s[70:71], exec, s[70:71]
	s_cbranch_execz .LBB2_37
; %bb.39:                               ;   in Loop: Header=BB2_38 Depth=3
	v_cmp_o_f32_e32 vcc, v15, v15
	s_mov_b64 s[72:73], -1
	s_mov_b64 s[74:75], -1
	s_and_saveexec_b64 s[76:77], vcc
	s_cbranch_execz .LBB2_36
; %bb.40:                               ;   in Loop: Header=BB2_38 Depth=3
	s_add_i32 s78, s78, -1
	s_cmp_eq_u32 s78, 0
	v_add_co_u32_e32 v8, vcc, 4, v8
	s_cselect_b64 s[72:73], -1, 0
	v_addc_co_u32_e32 v9, vcc, 0, v9, vcc
	s_xor_b64 s[74:75], exec, -1
	s_orn2_b64 s[72:73], s[72:73], exec
	s_branch .LBB2_36
.LBB2_41:                               ;   in Loop: Header=BB2_34 Depth=2
	s_or_b64 exec, exec, s[62:63]
	s_branch .LBB2_43
.LBB2_42:                               ;   in Loop: Header=BB2_34 Depth=2
	s_mov_b64 s[60:61], -1
                                        ; implicit-def: $sgpr58_sgpr59
                                        ; implicit-def: $vgpr14
.LBB2_43:                               ;   in Loop: Header=BB2_34 Depth=2
	s_andn2_b64 s[54:55], s[54:55], exec
	s_and_b64 s[62:63], s[58:59], exec
	s_or_b64 s[54:55], s[54:55], s[62:63]
	s_and_saveexec_b64 s[62:63], s[60:61]
	s_cbranch_execz .LBB2_33
; %bb.44:                               ;   in Loop: Header=BB2_34 Depth=2
	s_add_i32 s33, s33, 1
	s_add_i32 s16, s16, s21
	s_cmp_eq_u32 s33, s20
	s_cselect_b64 s[56:57], -1, 0
	s_andn2_b64 s[58:59], s[58:59], exec
	s_andn2_b64 s[54:55], s[54:55], exec
	s_orn2_b64 s[56:57], s[56:57], exec
                                        ; implicit-def: $vgpr14
	s_branch .LBB2_33
.LBB2_45:                               ;   in Loop: Header=BB2_9 Depth=1
	s_or_b64 exec, exec, s[6:7]
.LBB2_46:                               ;   in Loop: Header=BB2_9 Depth=1
	s_mov_b64 s[6:7], -1
	s_and_saveexec_b64 s[54:55], s[2:3]
	s_cbranch_execz .LBB2_6
.LBB2_47:                               ;   in Loop: Header=BB2_9 Depth=1
	s_mov_b64 s[2:3], -1
	s_and_b64 vcc, exec, s[36:37]
	s_cbranch_vccz .LBB2_51
; %bb.48:                               ;   in Loop: Header=BB2_9 Depth=1
	s_and_b64 vcc, exec, s[38:39]
	s_cbranch_vccz .LBB2_52
; %bb.49:                               ;   in Loop: Header=BB2_9 Depth=1
	v_cmp_le_i32_e32 vcc, v0, v13
	v_mov_b32_e32 v14, 7
	s_or_b64 s[56:57], s[50:51], exec
	s_and_b64 s[6:7], vcc, exec
	s_cbranch_execz .LBB2_53
	s_branch .LBB2_54
.LBB2_50:                               ;   in Loop: Header=BB2_9 Depth=1
	s_mov_b64 s[2:3], -1
	s_mov_b64 s[6:7], -1
	s_and_saveexec_b64 s[54:55], s[2:3]
	s_cbranch_execz .LBB2_6
	s_branch .LBB2_47
.LBB2_51:                               ;   in Loop: Header=BB2_9 Depth=1
	s_mov_b64 s[56:57], s[50:51]
	s_branch .LBB2_54
.LBB2_52:                               ;   in Loop: Header=BB2_9 Depth=1
	s_mov_b64 s[6:7], 0
	s_mov_b64 s[56:57], s[50:51]
.LBB2_53:                               ;   in Loop: Header=BB2_9 Depth=1
	v_cmp_ge_i32_e32 vcc, v0, v13
	s_andn2_b64 s[6:7], s[6:7], exec
	s_and_b64 s[58:59], vcc, exec
	v_mov_b32_e32 v14, 7
	s_or_b64 s[56:57], s[56:57], exec
	s_or_b64 s[6:7], s[6:7], s[58:59]
.LBB2_54:                               ;   in Loop: Header=BB2_9 Depth=1
	s_and_saveexec_b64 s[58:59], s[6:7]
	s_cbranch_execz .LBB2_5
; %bb.55:                               ;   in Loop: Header=BB2_9 Depth=1
	s_or_b64 s[60:61], s[14:15], s[52:53]
	s_xor_b64 s[2:3], s[60:61], -1
	s_mov_b64 s[52:53], s[56:57]
	s_and_saveexec_b64 s[62:63], s[2:3]
	s_cbranch_execz .LBB2_57
; %bb.56:                               ;   in Loop: Header=BB2_9 Depth=1
	global_load_dword v6, v[6:7], off offset:-4
	v_mov_b32_e32 v14, 6
	s_or_b64 s[52:53], s[56:57], exec
	s_waitcnt vmcnt(0)
	v_subrev_u32_e32 v7, s12, v6
	v_cmp_lt_i32_e64 s[2:3], -1, v7
	v_cmp_gt_i32_e64 s[6:7], s18, v7
	s_and_b64 s[2:3], s[2:3], s[6:7]
	v_cmp_gt_i32_e32 vcc, v12, v6
	s_xor_b64 s[2:3], s[2:3], -1
	s_or_b64 s[2:3], vcc, s[2:3]
	s_andn2_b64 s[6:7], s[60:61], exec
	s_and_b64 s[2:3], s[2:3], exec
	s_or_b64 s[60:61], s[6:7], s[2:3]
.LBB2_57:                               ;   in Loop: Header=BB2_9 Depth=1
	s_or_b64 exec, exec, s[62:63]
	s_mov_b64 s[2:3], -1
	s_and_saveexec_b64 s[6:7], s[60:61]
	s_cbranch_execz .LBB2_4
; %bb.58:                               ;   in Loop: Header=BB2_9 Depth=1
	v_mov_b32_e32 v6, s23
	v_add_co_u32_e32 v2, vcc, s22, v2
	v_add_u32_e32 v4, 1, v4
	v_addc_co_u32_e32 v1, vcc, v1, v6, vcc
	v_cmp_ge_i32_e32 vcc, v4, v11
	s_andn2_b64 s[52:53], s[52:53], exec
	s_orn2_b64 s[2:3], vcc, exec
                                        ; implicit-def: $vgpr14
	s_branch .LBB2_4
.LBB2_59:
	s_or_b64 exec, exec, s[10:11]
	s_and_b64 s[0:1], s[40:41], exec
.LBB2_60:
	s_or_b64 exec, exec, s[26:27]
	s_orn2_b64 s[6:7], s[0:1], exec
.LBB2_61:
	s_or_b64 exec, exec, s[24:25]
	s_and_b64 exec, exec, s[6:7]
	s_cbranch_execz .LBB2_63
; %bb.62:
	s_load_dwordx2 s[0:1], s[4:5], 0x48
	v_mov_b32_e32 v0, 0
	s_waitcnt lgkmcnt(0)
	global_store_dword v0, v14, s[0:1]
.LBB2_63:
	s_endpgm
	.section	.rodata,"a",@progbits
	.p2align	6, 0x0
	.amdhsa_kernel _ZN9rocsparseL25check_matrix_gebsr_deviceILj256EfiiEEv20rocsparse_direction_T2_S2_T1_S2_S2_PKT0_PKS3_PKS2_SA_21rocsparse_index_base_22rocsparse_matrix_type_20rocsparse_fill_mode_23rocsparse_storage_mode_P22rocsparse_data_status_
		.amdhsa_group_segment_fixed_size 0
		.amdhsa_private_segment_fixed_size 0
		.amdhsa_kernarg_size 80
		.amdhsa_user_sgpr_count 6
		.amdhsa_user_sgpr_private_segment_buffer 1
		.amdhsa_user_sgpr_dispatch_ptr 0
		.amdhsa_user_sgpr_queue_ptr 0
		.amdhsa_user_sgpr_kernarg_segment_ptr 1
		.amdhsa_user_sgpr_dispatch_id 0
		.amdhsa_user_sgpr_flat_scratch_init 0
		.amdhsa_user_sgpr_kernarg_preload_length 0
		.amdhsa_user_sgpr_kernarg_preload_offset 0
		.amdhsa_user_sgpr_private_segment_size 0
		.amdhsa_uses_dynamic_stack 0
		.amdhsa_system_sgpr_private_segment_wavefront_offset 0
		.amdhsa_system_sgpr_workgroup_id_x 1
		.amdhsa_system_sgpr_workgroup_id_y 0
		.amdhsa_system_sgpr_workgroup_id_z 0
		.amdhsa_system_sgpr_workgroup_info 0
		.amdhsa_system_vgpr_workitem_id 0
		.amdhsa_next_free_vgpr 16
		.amdhsa_next_free_sgpr 79
		.amdhsa_accum_offset 16
		.amdhsa_reserve_vcc 1
		.amdhsa_reserve_flat_scratch 0
		.amdhsa_float_round_mode_32 0
		.amdhsa_float_round_mode_16_64 0
		.amdhsa_float_denorm_mode_32 3
		.amdhsa_float_denorm_mode_16_64 3
		.amdhsa_dx10_clamp 1
		.amdhsa_ieee_mode 1
		.amdhsa_fp16_overflow 0
		.amdhsa_tg_split 0
		.amdhsa_exception_fp_ieee_invalid_op 0
		.amdhsa_exception_fp_denorm_src 0
		.amdhsa_exception_fp_ieee_div_zero 0
		.amdhsa_exception_fp_ieee_overflow 0
		.amdhsa_exception_fp_ieee_underflow 0
		.amdhsa_exception_fp_ieee_inexact 0
		.amdhsa_exception_int_div_zero 0
	.end_amdhsa_kernel
	.section	.text._ZN9rocsparseL25check_matrix_gebsr_deviceILj256EfiiEEv20rocsparse_direction_T2_S2_T1_S2_S2_PKT0_PKS3_PKS2_SA_21rocsparse_index_base_22rocsparse_matrix_type_20rocsparse_fill_mode_23rocsparse_storage_mode_P22rocsparse_data_status_,"axG",@progbits,_ZN9rocsparseL25check_matrix_gebsr_deviceILj256EfiiEEv20rocsparse_direction_T2_S2_T1_S2_S2_PKT0_PKS3_PKS2_SA_21rocsparse_index_base_22rocsparse_matrix_type_20rocsparse_fill_mode_23rocsparse_storage_mode_P22rocsparse_data_status_,comdat
.Lfunc_end2:
	.size	_ZN9rocsparseL25check_matrix_gebsr_deviceILj256EfiiEEv20rocsparse_direction_T2_S2_T1_S2_S2_PKT0_PKS3_PKS2_SA_21rocsparse_index_base_22rocsparse_matrix_type_20rocsparse_fill_mode_23rocsparse_storage_mode_P22rocsparse_data_status_, .Lfunc_end2-_ZN9rocsparseL25check_matrix_gebsr_deviceILj256EfiiEEv20rocsparse_direction_T2_S2_T1_S2_S2_PKT0_PKS3_PKS2_SA_21rocsparse_index_base_22rocsparse_matrix_type_20rocsparse_fill_mode_23rocsparse_storage_mode_P22rocsparse_data_status_
                                        ; -- End function
	.section	.AMDGPU.csdata,"",@progbits
; Kernel info:
; codeLenInByte = 1696
; NumSgprs: 83
; NumVgprs: 16
; NumAgprs: 0
; TotalNumVgprs: 16
; ScratchSize: 0
; MemoryBound: 0
; FloatMode: 240
; IeeeMode: 1
; LDSByteSize: 0 bytes/workgroup (compile time only)
; SGPRBlocks: 10
; VGPRBlocks: 1
; NumSGPRsForWavesPerEU: 83
; NumVGPRsForWavesPerEU: 16
; AccumOffset: 16
; Occupancy: 8
; WaveLimiterHint : 0
; COMPUTE_PGM_RSRC2:SCRATCH_EN: 0
; COMPUTE_PGM_RSRC2:USER_SGPR: 6
; COMPUTE_PGM_RSRC2:TRAP_HANDLER: 0
; COMPUTE_PGM_RSRC2:TGID_X_EN: 1
; COMPUTE_PGM_RSRC2:TGID_Y_EN: 0
; COMPUTE_PGM_RSRC2:TGID_Z_EN: 0
; COMPUTE_PGM_RSRC2:TIDIG_COMP_CNT: 0
; COMPUTE_PGM_RSRC3_GFX90A:ACCUM_OFFSET: 3
; COMPUTE_PGM_RSRC3_GFX90A:TG_SPLIT: 0
	.section	.text._ZN9rocsparseL25check_matrix_gebsr_deviceILj256EdiiEEv20rocsparse_direction_T2_S2_T1_S2_S2_PKT0_PKS3_PKS2_SA_21rocsparse_index_base_22rocsparse_matrix_type_20rocsparse_fill_mode_23rocsparse_storage_mode_P22rocsparse_data_status_,"axG",@progbits,_ZN9rocsparseL25check_matrix_gebsr_deviceILj256EdiiEEv20rocsparse_direction_T2_S2_T1_S2_S2_PKT0_PKS3_PKS2_SA_21rocsparse_index_base_22rocsparse_matrix_type_20rocsparse_fill_mode_23rocsparse_storage_mode_P22rocsparse_data_status_,comdat
	.globl	_ZN9rocsparseL25check_matrix_gebsr_deviceILj256EdiiEEv20rocsparse_direction_T2_S2_T1_S2_S2_PKT0_PKS3_PKS2_SA_21rocsparse_index_base_22rocsparse_matrix_type_20rocsparse_fill_mode_23rocsparse_storage_mode_P22rocsparse_data_status_ ; -- Begin function _ZN9rocsparseL25check_matrix_gebsr_deviceILj256EdiiEEv20rocsparse_direction_T2_S2_T1_S2_S2_PKT0_PKS3_PKS2_SA_21rocsparse_index_base_22rocsparse_matrix_type_20rocsparse_fill_mode_23rocsparse_storage_mode_P22rocsparse_data_status_
	.p2align	8
	.type	_ZN9rocsparseL25check_matrix_gebsr_deviceILj256EdiiEEv20rocsparse_direction_T2_S2_T1_S2_S2_PKT0_PKS3_PKS2_SA_21rocsparse_index_base_22rocsparse_matrix_type_20rocsparse_fill_mode_23rocsparse_storage_mode_P22rocsparse_data_status_,@function
_ZN9rocsparseL25check_matrix_gebsr_deviceILj256EdiiEEv20rocsparse_direction_T2_S2_T1_S2_S2_PKT0_PKS3_PKS2_SA_21rocsparse_index_base_22rocsparse_matrix_type_20rocsparse_fill_mode_23rocsparse_storage_mode_P22rocsparse_data_status_: ; @_ZN9rocsparseL25check_matrix_gebsr_deviceILj256EdiiEEv20rocsparse_direction_T2_S2_T1_S2_S2_PKT0_PKS3_PKS2_SA_21rocsparse_index_base_22rocsparse_matrix_type_20rocsparse_fill_mode_23rocsparse_storage_mode_P22rocsparse_data_status_
; %bb.0:
	s_load_dwordx4 s[16:19], s[4:5], 0x0
	v_lshl_or_b32 v0, s6, 8, v0
	s_waitcnt lgkmcnt(0)
	v_cmp_gt_i32_e32 vcc, s17, v0
	s_and_saveexec_b64 s[0:1], vcc
	s_cbranch_execz .LBB3_63
; %bb.1:
	s_load_dwordx2 s[0:1], s[4:5], 0x20
	v_ashrrev_i32_e32 v1, 31, v0
	v_lshlrev_b64 v[2:3], 2, v[0:1]
	s_mov_b64 s[6:7], -1
	v_mov_b32_e32 v16, 3
	s_waitcnt lgkmcnt(0)
	v_mov_b32_e32 v1, s1
	v_add_co_u32_e32 v2, vcc, s0, v2
	v_addc_co_u32_e32 v3, vcc, v1, v3, vcc
	global_load_dwordx2 v[2:3], v[2:3], off
	s_load_dword s0, s[0:1], 0x0
	s_waitcnt vmcnt(0) lgkmcnt(0)
	v_subrev_u32_e32 v13, s0, v3
	v_cmp_lt_i32_e32 vcc, v3, v2
	v_cmp_gt_i32_e64 s[2:3], 0, v13
	v_subrev_u32_e32 v12, s0, v2
	s_or_b64 s[2:3], s[2:3], vcc
	v_cmp_lt_i32_e64 s[0:1], -1, v12
	s_xor_b64 s[2:3], s[2:3], -1
	s_and_b64 s[0:1], s[0:1], s[2:3]
	s_and_saveexec_b64 s[24:25], s[0:1]
	s_cbranch_execz .LBB3_61
; %bb.2:
	v_cmp_lt_i32_e32 vcc, v2, v3
	s_mov_b64 s[0:1], 0
	v_mov_b32_e32 v16, 3
	s_and_saveexec_b64 s[26:27], vcc
	s_cbranch_execz .LBB3_60
; %bb.3:
	s_load_dwordx4 s[20:23], s[4:5], 0x10
	s_load_dwordx8 s[8:15], s[4:5], 0x28
	s_cmp_lg_u32 s16, 0
	s_cselect_b64 s[28:29], -1, 0
	s_mov_b32 s40, 0
	s_waitcnt lgkmcnt(0)
	s_mul_i32 s0, s21, s20
	s_cmp_gt_i32 s21, 0
	v_mad_u64_u32 v[2:3], s[2:3], s0, v12, 0
	s_cselect_b64 s[30:31], -1, 0
	s_cmp_gt_i32 s20, 0
	s_mul_hi_i32 s1, s21, s20
	v_mov_b32_e32 v4, v3
	s_cselect_b64 s[34:35], -1, 0
	s_cmp_lg_u32 s13, 0
	v_mad_u64_u32 v[4:5], s[2:3], s1, v12, v[4:5]
	s_cselect_b64 s[36:37], -1, 0
	s_cmp_lg_u32 s14, 0
	v_mov_b32_e32 v3, v4
	s_cselect_b64 s[38:39], -1, 0
	s_cmp_lg_u32 s15, 0
	v_lshlrev_b64 v[2:3], 3, v[2:3]
	s_cselect_b64 s[14:15], -1, 0
	s_add_u32 s13, s10, -4
	v_mov_b32_e32 v1, s23
	v_add_co_u32_e32 v2, vcc, s22, v2
	v_cndmask_b32_e64 v4, 0, 1, s[34:35]
	s_mov_b32 s17, 0
	s_addc_u32 s19, s11, -1
	v_addc_co_u32_e32 v1, vcc, v1, v3, vcc
	s_lshl_b64 s[22:23], s[0:1], 3
	s_mov_b64 s[10:11], 0
	v_mov_b32_e32 v5, 0
	v_mov_b32_e32 v3, s9
	s_mov_b32 s41, 0x7ff00000
	v_cmp_ne_u32_e64 s[0:1], 1, v4
	v_mov_b32_e32 v4, v12
                                        ; implicit-def: $sgpr42_sgpr43
                                        ; implicit-def: $sgpr44_sgpr45
                                        ; implicit-def: $sgpr46_sgpr47
	s_branch .LBB3_9
.LBB3_4:                                ;   in Loop: Header=BB3_9 Depth=1
	s_or_b64 exec, exec, s[6:7]
	s_andn2_b64 s[6:7], s[58:59], exec
	s_and_b64 s[54:55], s[54:55], exec
	s_or_b64 s[58:59], s[6:7], s[54:55]
	s_orn2_b64 s[2:3], s[2:3], exec
.LBB3_5:                                ;   in Loop: Header=BB3_9 Depth=1
	s_or_b64 exec, exec, s[60:61]
	s_andn2_b64 s[6:7], s[52:53], exec
	s_and_b64 s[52:53], s[58:59], exec
	s_or_b64 s[52:53], s[6:7], s[52:53]
	s_orn2_b64 s[6:7], s[2:3], exec
.LBB3_6:                                ;   in Loop: Header=BB3_9 Depth=1
	s_or_b64 exec, exec, s[56:57]
	s_orn2_b64 s[52:53], s[52:53], exec
	s_orn2_b64 s[2:3], s[6:7], exec
.LBB3_7:                                ;   in Loop: Header=BB3_9 Depth=1
	s_or_b64 exec, exec, s[50:51]
	s_andn2_b64 s[6:7], s[46:47], exec
	s_and_b64 s[46:47], s[52:53], exec
	s_or_b64 s[46:47], s[6:7], s[46:47]
	s_andn2_b64 s[6:7], s[44:45], exec
	s_and_b64 s[2:3], s[2:3], exec
	s_or_b64 s[44:45], s[6:7], s[2:3]
.LBB3_8:                                ;   in Loop: Header=BB3_9 Depth=1
	s_or_b64 exec, exec, s[48:49]
	s_and_b64 s[2:3], exec, s[44:45]
	s_or_b64 s[10:11], s[2:3], s[10:11]
	s_andn2_b64 s[2:3], s[42:43], exec
	s_and_b64 s[6:7], s[46:47], exec
	s_or_b64 s[42:43], s[2:3], s[6:7]
	s_andn2_b64 exec, exec, s[10:11]
	s_cbranch_execz .LBB3_59
.LBB3_9:                                ; =>This Loop Header: Depth=1
                                        ;     Child Loop BB3_34 Depth 2
                                        ;       Child Loop BB3_38 Depth 3
                                        ;     Child Loop BB3_17 Depth 2
                                        ;       Child Loop BB3_21 Depth 3
	v_lshlrev_b64 v[8:9], 2, v[4:5]
	v_add_co_u32_e32 v6, vcc, s8, v8
	v_addc_co_u32_e32 v7, vcc, v3, v9, vcc
	global_load_dword v14, v[6:7], off
	v_mov_b32_e32 v16, 4
	s_or_b64 s[46:47], s[46:47], exec
	s_or_b64 s[44:45], s[44:45], exec
	s_waitcnt vmcnt(0)
	v_subrev_u32_e32 v15, s12, v14
	v_cmp_lt_i32_e32 vcc, -1, v15
	v_cmp_gt_i32_e64 s[2:3], s18, v15
	s_and_b64 s[2:3], vcc, s[2:3]
	s_and_saveexec_b64 s[48:49], s[2:3]
	s_cbranch_execz .LBB3_8
; %bb.10:                               ;   in Loop: Header=BB3_9 Depth=1
	v_cmp_le_i32_e64 s[54:55], v4, v12
	v_cmp_gt_i32_e32 vcc, v4, v12
	v_mov_b32_e32 v16, 4
	s_mov_b64 s[6:7], s[54:55]
	s_and_saveexec_b64 s[50:51], vcc
	s_cbranch_execz .LBB3_12
; %bb.11:                               ;   in Loop: Header=BB3_9 Depth=1
	v_mov_b32_e32 v10, s19
	v_add_co_u32_e32 v8, vcc, s13, v8
	v_addc_co_u32_e32 v9, vcc, v10, v9, vcc
	global_load_dwordx2 v[8:9], v[8:9], off
	v_mov_b32_e32 v16, 5
	s_waitcnt vmcnt(0)
	v_subrev_u32_e32 v10, s12, v8
	v_cmp_lt_i32_e64 s[2:3], -1, v10
	v_cmp_gt_i32_e64 s[6:7], s18, v10
	s_and_b64 s[2:3], s[2:3], s[6:7]
	v_cmp_ne_u32_e32 vcc, v9, v8
	s_xor_b64 s[2:3], s[2:3], -1
	s_or_b64 s[2:3], vcc, s[2:3]
	s_andn2_b64 s[6:7], s[54:55], exec
	s_and_b64 s[2:3], s[2:3], exec
	s_or_b64 s[6:7], s[6:7], s[2:3]
.LBB3_12:                               ;   in Loop: Header=BB3_9 Depth=1
	s_or_b64 exec, exec, s[50:51]
	s_mov_b64 s[2:3], -1
	s_mov_b64 s[52:53], -1
	s_and_saveexec_b64 s[50:51], s[6:7]
	s_cbranch_execz .LBB3_7
; %bb.13:                               ;   in Loop: Header=BB3_9 Depth=1
	s_and_b64 vcc, exec, s[28:29]
	s_cbranch_vccz .LBB3_30
; %bb.14:                               ;   in Loop: Header=BB3_9 Depth=1
	s_and_b64 vcc, exec, s[30:31]
	s_cbranch_vccz .LBB3_29
; %bb.15:                               ;   in Loop: Header=BB3_9 Depth=1
	s_mov_b32 s16, 0
	s_mov_b64 s[6:7], 0
	s_mov_b32 s9, s16
                                        ; implicit-def: $sgpr2_sgpr3
                                        ; implicit-def: $sgpr52_sgpr53
                                        ; implicit-def: $sgpr56_sgpr57
	s_branch .LBB3_17
.LBB3_16:                               ;   in Loop: Header=BB3_17 Depth=2
	s_or_b64 exec, exec, s[64:65]
	s_xor_b64 s[60:61], s[60:61], -1
	s_and_b64 s[58:59], exec, s[58:59]
	s_or_b64 s[6:7], s[58:59], s[6:7]
	s_andn2_b64 s[52:53], s[52:53], exec
	s_and_b64 s[58:59], s[56:57], exec
	s_or_b64 s[52:53], s[52:53], s[58:59]
	s_andn2_b64 s[2:3], s[2:3], exec
	s_and_b64 s[58:59], s[60:61], exec
	s_or_b64 s[2:3], s[2:3], s[58:59]
	s_andn2_b64 exec, exec, s[6:7]
	s_cbranch_execz .LBB3_28
.LBB3_17:                               ;   Parent Loop BB3_9 Depth=1
                                        ; =>  This Loop Header: Depth=2
                                        ;       Child Loop BB3_21 Depth 3
	s_and_b64 vcc, exec, s[0:1]
	s_mov_b64 s[58:59], -1
	s_cbranch_vccnz .LBB3_25
; %bb.18:                               ;   in Loop: Header=BB3_17 Depth=2
	s_lshl_b64 s[60:61], s[16:17], 3
	v_mov_b32_e32 v9, s61
	v_add_co_u32_e32 v8, vcc, s60, v2
	v_addc_co_u32_e32 v9, vcc, v1, v9, vcc
	s_mov_b64 s[64:65], 0
	s_mov_b32 s33, s20
                                        ; implicit-def: $sgpr62_sgpr63
                                        ; implicit-def: $sgpr60_sgpr61
                                        ; implicit-def: $sgpr66_sgpr67
                                        ; implicit-def: $sgpr68_sgpr69
	s_branch .LBB3_21
.LBB3_19:                               ;   in Loop: Header=BB3_21 Depth=3
	s_or_b64 exec, exec, s[78:79]
	s_andn2_b64 s[68:69], s[68:69], exec
	s_and_b64 s[76:77], s[76:77], exec
	s_andn2_b64 s[66:67], s[66:67], exec
	s_and_b64 s[74:75], s[74:75], exec
	v_mov_b32_e32 v16, 2
	s_or_b64 s[68:69], s[68:69], s[76:77]
	s_or_b64 s[66:67], s[66:67], s[74:75]
.LBB3_20:                               ;   in Loop: Header=BB3_21 Depth=3
	s_or_b64 exec, exec, s[72:73]
	s_xor_b64 s[72:73], s[68:69], -1
	s_and_b64 s[74:75], exec, s[66:67]
	s_or_b64 s[64:65], s[74:75], s[64:65]
	s_andn2_b64 s[60:61], s[60:61], exec
	s_and_b64 s[70:71], s[70:71], exec
	s_or_b64 s[60:61], s[60:61], s[70:71]
	s_andn2_b64 s[62:63], s[62:63], exec
	s_and_b64 s[70:71], s[72:73], exec
	s_or_b64 s[62:63], s[62:63], s[70:71]
	s_andn2_b64 exec, exec, s[64:65]
	s_cbranch_execz .LBB3_24
.LBB3_21:                               ;   Parent Loop BB3_9 Depth=1
                                        ;     Parent Loop BB3_17 Depth=2
                                        ; =>    This Inner Loop Header: Depth=3
	global_load_dwordx2 v[10:11], v[8:9], off
	s_mov_b64 s[70:71], -1
	v_mov_b32_e32 v16, 1
	s_or_b64 s[68:69], s[68:69], exec
	s_or_b64 s[66:67], s[66:67], exec
	s_waitcnt vmcnt(0)
	v_cmp_neq_f64_e32 vcc, s[40:41], v[10:11]
	s_and_saveexec_b64 s[72:73], vcc
	s_xor_b64 s[72:73], exec, s[72:73]
	s_cbranch_execz .LBB3_20
; %bb.22:                               ;   in Loop: Header=BB3_21 Depth=3
	v_cmp_o_f64_e32 vcc, v[10:11], v[10:11]
	s_mov_b64 s[74:75], -1
	s_mov_b64 s[76:77], -1
	s_and_saveexec_b64 s[78:79], vcc
	s_cbranch_execz .LBB3_19
; %bb.23:                               ;   in Loop: Header=BB3_21 Depth=3
	s_add_i32 s33, s33, -1
	s_cmp_eq_u32 s33, 0
	v_add_co_u32_e32 v8, vcc, 8, v8
	s_cselect_b64 s[74:75], -1, 0
	v_addc_co_u32_e32 v9, vcc, 0, v9, vcc
	s_xor_b64 s[76:77], exec, -1
	s_orn2_b64 s[74:75], s[74:75], exec
	s_branch .LBB3_19
.LBB3_24:                               ;   in Loop: Header=BB3_17 Depth=2
	s_or_b64 exec, exec, s[64:65]
	s_branch .LBB3_26
.LBB3_25:                               ;   in Loop: Header=BB3_17 Depth=2
	s_mov_b64 s[62:63], -1
                                        ; implicit-def: $sgpr60_sgpr61
                                        ; implicit-def: $vgpr16
.LBB3_26:                               ;   in Loop: Header=BB3_17 Depth=2
	s_andn2_b64 s[56:57], s[56:57], exec
	s_and_b64 s[64:65], s[60:61], exec
	s_or_b64 s[56:57], s[56:57], s[64:65]
	s_and_saveexec_b64 s[64:65], s[62:63]
	s_cbranch_execz .LBB3_16
; %bb.27:                               ;   in Loop: Header=BB3_17 Depth=2
	s_add_i32 s9, s9, 1
	s_add_i32 s16, s16, s20
	s_cmp_eq_u32 s9, s21
	s_cselect_b64 s[58:59], -1, 0
	s_andn2_b64 s[60:61], s[60:61], exec
	s_andn2_b64 s[56:57], s[56:57], exec
	s_orn2_b64 s[58:59], s[58:59], exec
                                        ; implicit-def: $vgpr16
	s_branch .LBB3_16
.LBB3_28:                               ;   in Loop: Header=BB3_9 Depth=1
	s_or_b64 exec, exec, s[6:7]
.LBB3_29:                               ;   in Loop: Header=BB3_9 Depth=1
	s_branch .LBB3_46
.LBB3_30:                               ;   in Loop: Header=BB3_9 Depth=1
	s_mov_b64 s[2:3], 0
	s_cbranch_execz .LBB3_46
; %bb.31:                               ;   in Loop: Header=BB3_9 Depth=1
	s_and_b64 vcc, exec, s[34:35]
	s_cbranch_vccz .LBB3_50
; %bb.32:                               ;   in Loop: Header=BB3_9 Depth=1
	s_mov_b32 s16, 0
	s_mov_b64 s[6:7], 0
	s_mov_b32 s9, s16
                                        ; implicit-def: $sgpr2_sgpr3
                                        ; implicit-def: $sgpr52_sgpr53
                                        ; implicit-def: $sgpr56_sgpr57
	s_branch .LBB3_34
.LBB3_33:                               ;   in Loop: Header=BB3_34 Depth=2
	s_or_b64 exec, exec, s[64:65]
	s_xor_b64 s[60:61], s[60:61], -1
	s_and_b64 s[58:59], exec, s[58:59]
	s_or_b64 s[6:7], s[58:59], s[6:7]
	s_andn2_b64 s[52:53], s[52:53], exec
	s_and_b64 s[58:59], s[56:57], exec
	s_or_b64 s[52:53], s[52:53], s[58:59]
	s_andn2_b64 s[2:3], s[2:3], exec
	s_and_b64 s[58:59], s[60:61], exec
	s_or_b64 s[2:3], s[2:3], s[58:59]
	s_andn2_b64 exec, exec, s[6:7]
	s_cbranch_execz .LBB3_45
.LBB3_34:                               ;   Parent Loop BB3_9 Depth=1
                                        ; =>  This Loop Header: Depth=2
                                        ;       Child Loop BB3_38 Depth 3
	s_andn2_b64 vcc, exec, s[30:31]
	s_mov_b64 s[58:59], -1
	s_cbranch_vccnz .LBB3_42
; %bb.35:                               ;   in Loop: Header=BB3_34 Depth=2
	s_lshl_b64 s[60:61], s[16:17], 3
	v_mov_b32_e32 v9, s61
	v_add_co_u32_e32 v8, vcc, s60, v2
	v_addc_co_u32_e32 v9, vcc, v1, v9, vcc
	s_mov_b64 s[64:65], 0
	s_mov_b32 s33, s21
                                        ; implicit-def: $sgpr62_sgpr63
                                        ; implicit-def: $sgpr60_sgpr61
                                        ; implicit-def: $sgpr66_sgpr67
                                        ; implicit-def: $sgpr68_sgpr69
	s_branch .LBB3_38
.LBB3_36:                               ;   in Loop: Header=BB3_38 Depth=3
	s_or_b64 exec, exec, s[78:79]
	s_andn2_b64 s[68:69], s[68:69], exec
	s_and_b64 s[76:77], s[76:77], exec
	s_andn2_b64 s[66:67], s[66:67], exec
	s_and_b64 s[74:75], s[74:75], exec
	v_mov_b32_e32 v16, 2
	s_or_b64 s[68:69], s[68:69], s[76:77]
	s_or_b64 s[66:67], s[66:67], s[74:75]
.LBB3_37:                               ;   in Loop: Header=BB3_38 Depth=3
	s_or_b64 exec, exec, s[72:73]
	s_xor_b64 s[72:73], s[68:69], -1
	s_and_b64 s[74:75], exec, s[66:67]
	s_or_b64 s[64:65], s[74:75], s[64:65]
	s_andn2_b64 s[60:61], s[60:61], exec
	s_and_b64 s[70:71], s[70:71], exec
	s_or_b64 s[60:61], s[60:61], s[70:71]
	s_andn2_b64 s[62:63], s[62:63], exec
	s_and_b64 s[70:71], s[72:73], exec
	s_or_b64 s[62:63], s[62:63], s[70:71]
	s_andn2_b64 exec, exec, s[64:65]
	s_cbranch_execz .LBB3_41
.LBB3_38:                               ;   Parent Loop BB3_9 Depth=1
                                        ;     Parent Loop BB3_34 Depth=2
                                        ; =>    This Inner Loop Header: Depth=3
	global_load_dwordx2 v[10:11], v[8:9], off
	s_mov_b64 s[70:71], -1
	v_mov_b32_e32 v16, 1
	s_or_b64 s[68:69], s[68:69], exec
	s_or_b64 s[66:67], s[66:67], exec
	s_waitcnt vmcnt(0)
	v_cmp_neq_f64_e32 vcc, s[40:41], v[10:11]
	s_and_saveexec_b64 s[72:73], vcc
	s_xor_b64 s[72:73], exec, s[72:73]
	s_cbranch_execz .LBB3_37
; %bb.39:                               ;   in Loop: Header=BB3_38 Depth=3
	v_cmp_o_f64_e32 vcc, v[10:11], v[10:11]
	s_mov_b64 s[74:75], -1
	s_mov_b64 s[76:77], -1
	s_and_saveexec_b64 s[78:79], vcc
	s_cbranch_execz .LBB3_36
; %bb.40:                               ;   in Loop: Header=BB3_38 Depth=3
	s_add_i32 s33, s33, -1
	s_cmp_eq_u32 s33, 0
	v_add_co_u32_e32 v8, vcc, 8, v8
	s_cselect_b64 s[74:75], -1, 0
	v_addc_co_u32_e32 v9, vcc, 0, v9, vcc
	s_xor_b64 s[76:77], exec, -1
	s_orn2_b64 s[74:75], s[74:75], exec
	s_branch .LBB3_36
.LBB3_41:                               ;   in Loop: Header=BB3_34 Depth=2
	s_or_b64 exec, exec, s[64:65]
	s_branch .LBB3_43
.LBB3_42:                               ;   in Loop: Header=BB3_34 Depth=2
	s_mov_b64 s[62:63], -1
                                        ; implicit-def: $sgpr60_sgpr61
                                        ; implicit-def: $vgpr16
.LBB3_43:                               ;   in Loop: Header=BB3_34 Depth=2
	s_andn2_b64 s[56:57], s[56:57], exec
	s_and_b64 s[64:65], s[60:61], exec
	s_or_b64 s[56:57], s[56:57], s[64:65]
	s_and_saveexec_b64 s[64:65], s[62:63]
	s_cbranch_execz .LBB3_33
; %bb.44:                               ;   in Loop: Header=BB3_34 Depth=2
	s_add_i32 s9, s9, 1
	s_add_i32 s16, s16, s21
	s_cmp_eq_u32 s9, s20
	s_cselect_b64 s[58:59], -1, 0
	s_andn2_b64 s[60:61], s[60:61], exec
	s_andn2_b64 s[56:57], s[56:57], exec
	s_orn2_b64 s[58:59], s[58:59], exec
                                        ; implicit-def: $vgpr16
	s_branch .LBB3_33
.LBB3_45:                               ;   in Loop: Header=BB3_9 Depth=1
	s_or_b64 exec, exec, s[6:7]
.LBB3_46:                               ;   in Loop: Header=BB3_9 Depth=1
	s_mov_b64 s[6:7], -1
	s_and_saveexec_b64 s[56:57], s[2:3]
	s_cbranch_execz .LBB3_6
.LBB3_47:                               ;   in Loop: Header=BB3_9 Depth=1
	s_mov_b64 s[2:3], -1
	s_and_b64 vcc, exec, s[36:37]
	s_cbranch_vccz .LBB3_51
; %bb.48:                               ;   in Loop: Header=BB3_9 Depth=1
	s_and_b64 vcc, exec, s[38:39]
	s_cbranch_vccz .LBB3_52
; %bb.49:                               ;   in Loop: Header=BB3_9 Depth=1
	v_cmp_le_i32_e32 vcc, v0, v15
	v_mov_b32_e32 v16, 7
	s_or_b64 s[58:59], s[52:53], exec
	s_and_b64 s[6:7], vcc, exec
	s_cbranch_execz .LBB3_53
	s_branch .LBB3_54
.LBB3_50:                               ;   in Loop: Header=BB3_9 Depth=1
	s_mov_b64 s[2:3], -1
	s_mov_b64 s[6:7], -1
	s_and_saveexec_b64 s[56:57], s[2:3]
	s_cbranch_execz .LBB3_6
	s_branch .LBB3_47
.LBB3_51:                               ;   in Loop: Header=BB3_9 Depth=1
	s_mov_b64 s[58:59], s[52:53]
	s_branch .LBB3_54
.LBB3_52:                               ;   in Loop: Header=BB3_9 Depth=1
	s_mov_b64 s[6:7], 0
	s_mov_b64 s[58:59], s[52:53]
.LBB3_53:                               ;   in Loop: Header=BB3_9 Depth=1
	v_cmp_ge_i32_e32 vcc, v0, v15
	s_andn2_b64 s[6:7], s[6:7], exec
	s_and_b64 s[60:61], vcc, exec
	v_mov_b32_e32 v16, 7
	s_or_b64 s[58:59], s[58:59], exec
	s_or_b64 s[6:7], s[6:7], s[60:61]
.LBB3_54:                               ;   in Loop: Header=BB3_9 Depth=1
	s_and_saveexec_b64 s[60:61], s[6:7]
	s_cbranch_execz .LBB3_5
; %bb.55:                               ;   in Loop: Header=BB3_9 Depth=1
	s_or_b64 s[62:63], s[14:15], s[54:55]
	s_xor_b64 s[2:3], s[62:63], -1
	s_mov_b64 s[54:55], s[58:59]
	s_and_saveexec_b64 s[64:65], s[2:3]
	s_cbranch_execz .LBB3_57
; %bb.56:                               ;   in Loop: Header=BB3_9 Depth=1
	global_load_dword v6, v[6:7], off offset:-4
	v_mov_b32_e32 v16, 6
	s_or_b64 s[54:55], s[58:59], exec
	s_waitcnt vmcnt(0)
	v_subrev_u32_e32 v7, s12, v6
	v_cmp_lt_i32_e64 s[2:3], -1, v7
	v_cmp_gt_i32_e64 s[6:7], s18, v7
	s_and_b64 s[2:3], s[2:3], s[6:7]
	v_cmp_gt_i32_e32 vcc, v14, v6
	s_xor_b64 s[2:3], s[2:3], -1
	s_or_b64 s[2:3], vcc, s[2:3]
	s_andn2_b64 s[6:7], s[62:63], exec
	s_and_b64 s[2:3], s[2:3], exec
	s_or_b64 s[62:63], s[6:7], s[2:3]
.LBB3_57:                               ;   in Loop: Header=BB3_9 Depth=1
	s_or_b64 exec, exec, s[64:65]
	s_mov_b64 s[2:3], -1
	s_and_saveexec_b64 s[6:7], s[62:63]
	s_cbranch_execz .LBB3_4
; %bb.58:                               ;   in Loop: Header=BB3_9 Depth=1
	v_mov_b32_e32 v6, s23
	v_add_co_u32_e32 v2, vcc, s22, v2
	v_add_u32_e32 v4, 1, v4
	v_addc_co_u32_e32 v1, vcc, v1, v6, vcc
	v_cmp_ge_i32_e32 vcc, v4, v13
	s_andn2_b64 s[54:55], s[54:55], exec
	s_orn2_b64 s[2:3], vcc, exec
                                        ; implicit-def: $vgpr16
	s_branch .LBB3_4
.LBB3_59:
	s_or_b64 exec, exec, s[10:11]
	s_and_b64 s[0:1], s[42:43], exec
.LBB3_60:
	s_or_b64 exec, exec, s[26:27]
	s_orn2_b64 s[6:7], s[0:1], exec
.LBB3_61:
	s_or_b64 exec, exec, s[24:25]
	s_and_b64 exec, exec, s[6:7]
	s_cbranch_execz .LBB3_63
; %bb.62:
	s_load_dwordx2 s[0:1], s[4:5], 0x48
	v_mov_b32_e32 v0, 0
	s_waitcnt lgkmcnt(0)
	global_store_dword v0, v16, s[0:1]
.LBB3_63:
	s_endpgm
	.section	.rodata,"a",@progbits
	.p2align	6, 0x0
	.amdhsa_kernel _ZN9rocsparseL25check_matrix_gebsr_deviceILj256EdiiEEv20rocsparse_direction_T2_S2_T1_S2_S2_PKT0_PKS3_PKS2_SA_21rocsparse_index_base_22rocsparse_matrix_type_20rocsparse_fill_mode_23rocsparse_storage_mode_P22rocsparse_data_status_
		.amdhsa_group_segment_fixed_size 0
		.amdhsa_private_segment_fixed_size 0
		.amdhsa_kernarg_size 80
		.amdhsa_user_sgpr_count 6
		.amdhsa_user_sgpr_private_segment_buffer 1
		.amdhsa_user_sgpr_dispatch_ptr 0
		.amdhsa_user_sgpr_queue_ptr 0
		.amdhsa_user_sgpr_kernarg_segment_ptr 1
		.amdhsa_user_sgpr_dispatch_id 0
		.amdhsa_user_sgpr_flat_scratch_init 0
		.amdhsa_user_sgpr_kernarg_preload_length 0
		.amdhsa_user_sgpr_kernarg_preload_offset 0
		.amdhsa_user_sgpr_private_segment_size 0
		.amdhsa_uses_dynamic_stack 0
		.amdhsa_system_sgpr_private_segment_wavefront_offset 0
		.amdhsa_system_sgpr_workgroup_id_x 1
		.amdhsa_system_sgpr_workgroup_id_y 0
		.amdhsa_system_sgpr_workgroup_id_z 0
		.amdhsa_system_sgpr_workgroup_info 0
		.amdhsa_system_vgpr_workitem_id 0
		.amdhsa_next_free_vgpr 17
		.amdhsa_next_free_sgpr 80
		.amdhsa_accum_offset 20
		.amdhsa_reserve_vcc 1
		.amdhsa_reserve_flat_scratch 0
		.amdhsa_float_round_mode_32 0
		.amdhsa_float_round_mode_16_64 0
		.amdhsa_float_denorm_mode_32 3
		.amdhsa_float_denorm_mode_16_64 3
		.amdhsa_dx10_clamp 1
		.amdhsa_ieee_mode 1
		.amdhsa_fp16_overflow 0
		.amdhsa_tg_split 0
		.amdhsa_exception_fp_ieee_invalid_op 0
		.amdhsa_exception_fp_denorm_src 0
		.amdhsa_exception_fp_ieee_div_zero 0
		.amdhsa_exception_fp_ieee_overflow 0
		.amdhsa_exception_fp_ieee_underflow 0
		.amdhsa_exception_fp_ieee_inexact 0
		.amdhsa_exception_int_div_zero 0
	.end_amdhsa_kernel
	.section	.text._ZN9rocsparseL25check_matrix_gebsr_deviceILj256EdiiEEv20rocsparse_direction_T2_S2_T1_S2_S2_PKT0_PKS3_PKS2_SA_21rocsparse_index_base_22rocsparse_matrix_type_20rocsparse_fill_mode_23rocsparse_storage_mode_P22rocsparse_data_status_,"axG",@progbits,_ZN9rocsparseL25check_matrix_gebsr_deviceILj256EdiiEEv20rocsparse_direction_T2_S2_T1_S2_S2_PKT0_PKS3_PKS2_SA_21rocsparse_index_base_22rocsparse_matrix_type_20rocsparse_fill_mode_23rocsparse_storage_mode_P22rocsparse_data_status_,comdat
.Lfunc_end3:
	.size	_ZN9rocsparseL25check_matrix_gebsr_deviceILj256EdiiEEv20rocsparse_direction_T2_S2_T1_S2_S2_PKT0_PKS3_PKS2_SA_21rocsparse_index_base_22rocsparse_matrix_type_20rocsparse_fill_mode_23rocsparse_storage_mode_P22rocsparse_data_status_, .Lfunc_end3-_ZN9rocsparseL25check_matrix_gebsr_deviceILj256EdiiEEv20rocsparse_direction_T2_S2_T1_S2_S2_PKT0_PKS3_PKS2_SA_21rocsparse_index_base_22rocsparse_matrix_type_20rocsparse_fill_mode_23rocsparse_storage_mode_P22rocsparse_data_status_
                                        ; -- End function
	.section	.AMDGPU.csdata,"",@progbits
; Kernel info:
; codeLenInByte = 1700
; NumSgprs: 84
; NumVgprs: 17
; NumAgprs: 0
; TotalNumVgprs: 17
; ScratchSize: 0
; MemoryBound: 0
; FloatMode: 240
; IeeeMode: 1
; LDSByteSize: 0 bytes/workgroup (compile time only)
; SGPRBlocks: 10
; VGPRBlocks: 2
; NumSGPRsForWavesPerEU: 84
; NumVGPRsForWavesPerEU: 17
; AccumOffset: 20
; Occupancy: 8
; WaveLimiterHint : 0
; COMPUTE_PGM_RSRC2:SCRATCH_EN: 0
; COMPUTE_PGM_RSRC2:USER_SGPR: 6
; COMPUTE_PGM_RSRC2:TRAP_HANDLER: 0
; COMPUTE_PGM_RSRC2:TGID_X_EN: 1
; COMPUTE_PGM_RSRC2:TGID_Y_EN: 0
; COMPUTE_PGM_RSRC2:TGID_Z_EN: 0
; COMPUTE_PGM_RSRC2:TIDIG_COMP_CNT: 0
; COMPUTE_PGM_RSRC3_GFX90A:ACCUM_OFFSET: 4
; COMPUTE_PGM_RSRC3_GFX90A:TG_SPLIT: 0
	.section	.text._ZN9rocsparseL25check_matrix_gebsr_deviceILj256E21rocsparse_complex_numIfEiiEEv20rocsparse_direction_T2_S4_T1_S4_S4_PKT0_PKS5_PKS4_SC_21rocsparse_index_base_22rocsparse_matrix_type_20rocsparse_fill_mode_23rocsparse_storage_mode_P22rocsparse_data_status_,"axG",@progbits,_ZN9rocsparseL25check_matrix_gebsr_deviceILj256E21rocsparse_complex_numIfEiiEEv20rocsparse_direction_T2_S4_T1_S4_S4_PKT0_PKS5_PKS4_SC_21rocsparse_index_base_22rocsparse_matrix_type_20rocsparse_fill_mode_23rocsparse_storage_mode_P22rocsparse_data_status_,comdat
	.globl	_ZN9rocsparseL25check_matrix_gebsr_deviceILj256E21rocsparse_complex_numIfEiiEEv20rocsparse_direction_T2_S4_T1_S4_S4_PKT0_PKS5_PKS4_SC_21rocsparse_index_base_22rocsparse_matrix_type_20rocsparse_fill_mode_23rocsparse_storage_mode_P22rocsparse_data_status_ ; -- Begin function _ZN9rocsparseL25check_matrix_gebsr_deviceILj256E21rocsparse_complex_numIfEiiEEv20rocsparse_direction_T2_S4_T1_S4_S4_PKT0_PKS5_PKS4_SC_21rocsparse_index_base_22rocsparse_matrix_type_20rocsparse_fill_mode_23rocsparse_storage_mode_P22rocsparse_data_status_
	.p2align	8
	.type	_ZN9rocsparseL25check_matrix_gebsr_deviceILj256E21rocsparse_complex_numIfEiiEEv20rocsparse_direction_T2_S4_T1_S4_S4_PKT0_PKS5_PKS4_SC_21rocsparse_index_base_22rocsparse_matrix_type_20rocsparse_fill_mode_23rocsparse_storage_mode_P22rocsparse_data_status_,@function
_ZN9rocsparseL25check_matrix_gebsr_deviceILj256E21rocsparse_complex_numIfEiiEEv20rocsparse_direction_T2_S4_T1_S4_S4_PKT0_PKS5_PKS4_SC_21rocsparse_index_base_22rocsparse_matrix_type_20rocsparse_fill_mode_23rocsparse_storage_mode_P22rocsparse_data_status_: ; @_ZN9rocsparseL25check_matrix_gebsr_deviceILj256E21rocsparse_complex_numIfEiiEEv20rocsparse_direction_T2_S4_T1_S4_S4_PKT0_PKS5_PKS4_SC_21rocsparse_index_base_22rocsparse_matrix_type_20rocsparse_fill_mode_23rocsparse_storage_mode_P22rocsparse_data_status_
; %bb.0:
	s_load_dwordx4 s[16:19], s[4:5], 0x0
	v_lshl_or_b32 v0, s6, 8, v0
	s_waitcnt lgkmcnt(0)
	v_cmp_gt_i32_e32 vcc, s17, v0
	s_and_saveexec_b64 s[0:1], vcc
	s_cbranch_execz .LBB4_63
; %bb.1:
	s_load_dwordx2 s[0:1], s[4:5], 0x20
	v_ashrrev_i32_e32 v1, 31, v0
	v_lshlrev_b64 v[2:3], 2, v[0:1]
	s_mov_b64 s[6:7], -1
	v_mov_b32_e32 v14, 3
	s_waitcnt lgkmcnt(0)
	v_mov_b32_e32 v1, s1
	v_add_co_u32_e32 v2, vcc, s0, v2
	v_addc_co_u32_e32 v3, vcc, v1, v3, vcc
	global_load_dwordx2 v[2:3], v[2:3], off
	s_load_dword s0, s[0:1], 0x0
	s_waitcnt vmcnt(0) lgkmcnt(0)
	v_subrev_u32_e32 v11, s0, v3
	v_cmp_lt_i32_e32 vcc, v3, v2
	v_cmp_gt_i32_e64 s[2:3], 0, v11
	v_subrev_u32_e32 v10, s0, v2
	s_or_b64 s[2:3], s[2:3], vcc
	v_cmp_lt_i32_e64 s[0:1], -1, v10
	s_xor_b64 s[2:3], s[2:3], -1
	s_and_b64 s[0:1], s[0:1], s[2:3]
	s_and_saveexec_b64 s[24:25], s[0:1]
	s_cbranch_execz .LBB4_61
; %bb.2:
	v_cmp_lt_i32_e32 vcc, v2, v3
	s_mov_b64 s[0:1], 0
	v_mov_b32_e32 v14, 3
	s_and_saveexec_b64 s[26:27], vcc
	s_cbranch_execz .LBB4_60
; %bb.3:
	s_load_dwordx4 s[20:23], s[4:5], 0x10
	s_load_dwordx8 s[8:15], s[4:5], 0x28
	s_cmp_lg_u32 s16, 0
	s_cselect_b64 s[28:29], -1, 0
	s_mov_b32 s17, 0
	s_waitcnt lgkmcnt(0)
	s_mul_i32 s0, s21, s20
	s_cmp_gt_i32 s21, 0
	v_mad_u64_u32 v[2:3], s[2:3], s0, v10, 0
	s_cselect_b64 s[30:31], -1, 0
	s_cmp_gt_i32 s20, 0
	s_mul_hi_i32 s1, s21, s20
	v_mov_b32_e32 v4, v3
	s_cselect_b64 s[34:35], -1, 0
	s_cmp_lg_u32 s13, 0
	v_mad_u64_u32 v[4:5], s[2:3], s1, v10, v[4:5]
	s_cselect_b64 s[36:37], -1, 0
	s_cmp_lg_u32 s14, 0
	v_mov_b32_e32 v3, v4
	s_cselect_b64 s[38:39], -1, 0
	s_cmp_lg_u32 s15, 0
	v_lshlrev_b64 v[2:3], 3, v[2:3]
	s_cselect_b64 s[14:15], -1, 0
	s_add_u32 s13, s10, -4
	v_mov_b32_e32 v1, s23
	v_add_co_u32_e32 v2, vcc, s22, v2
	v_cndmask_b32_e64 v4, 0, 1, s[34:35]
	s_addc_u32 s19, s11, -1
	v_addc_co_u32_e32 v1, vcc, v1, v3, vcc
	s_lshl_b64 s[22:23], s[0:1], 3
	s_mov_b64 s[10:11], 0
	v_mov_b32_e32 v5, 0
	v_mov_b32_e32 v3, s9
	s_mov_b32 s9, 0x7f800000
	v_cmp_ne_u32_e64 s[0:1], 1, v4
	v_mov_b32_e32 v4, v10
                                        ; implicit-def: $sgpr40_sgpr41
                                        ; implicit-def: $sgpr42_sgpr43
                                        ; implicit-def: $sgpr44_sgpr45
	s_branch .LBB4_9
.LBB4_4:                                ;   in Loop: Header=BB4_9 Depth=1
	s_or_b64 exec, exec, s[6:7]
	s_andn2_b64 s[6:7], s[56:57], exec
	s_and_b64 s[52:53], s[52:53], exec
	s_or_b64 s[56:57], s[6:7], s[52:53]
	s_orn2_b64 s[2:3], s[2:3], exec
.LBB4_5:                                ;   in Loop: Header=BB4_9 Depth=1
	s_or_b64 exec, exec, s[58:59]
	s_andn2_b64 s[6:7], s[50:51], exec
	s_and_b64 s[50:51], s[56:57], exec
	s_or_b64 s[50:51], s[6:7], s[50:51]
	s_orn2_b64 s[2:3], s[2:3], exec
.LBB4_6:                                ;   in Loop: Header=BB4_9 Depth=1
	s_or_b64 exec, exec, s[54:55]
	s_orn2_b64 s[6:7], s[50:51], exec
	s_orn2_b64 s[2:3], s[2:3], exec
.LBB4_7:                                ;   in Loop: Header=BB4_9 Depth=1
	s_or_b64 exec, exec, s[48:49]
	s_andn2_b64 s[44:45], s[44:45], exec
	s_and_b64 s[6:7], s[6:7], exec
	s_or_b64 s[44:45], s[44:45], s[6:7]
	s_andn2_b64 s[6:7], s[42:43], exec
	s_and_b64 s[2:3], s[2:3], exec
	s_or_b64 s[42:43], s[6:7], s[2:3]
.LBB4_8:                                ;   in Loop: Header=BB4_9 Depth=1
	s_or_b64 exec, exec, s[46:47]
	s_and_b64 s[2:3], exec, s[42:43]
	s_or_b64 s[10:11], s[2:3], s[10:11]
	s_andn2_b64 s[2:3], s[40:41], exec
	s_and_b64 s[6:7], s[44:45], exec
	s_or_b64 s[40:41], s[2:3], s[6:7]
	s_andn2_b64 exec, exec, s[10:11]
	s_cbranch_execz .LBB4_59
.LBB4_9:                                ; =>This Loop Header: Depth=1
                                        ;     Child Loop BB4_34 Depth 2
                                        ;       Child Loop BB4_38 Depth 3
                                        ;     Child Loop BB4_17 Depth 2
                                        ;       Child Loop BB4_21 Depth 3
	v_lshlrev_b64 v[8:9], 2, v[4:5]
	v_add_co_u32_e32 v6, vcc, s8, v8
	v_addc_co_u32_e32 v7, vcc, v3, v9, vcc
	global_load_dword v12, v[6:7], off
	v_mov_b32_e32 v14, 4
	s_or_b64 s[44:45], s[44:45], exec
	s_or_b64 s[42:43], s[42:43], exec
	s_waitcnt vmcnt(0)
	v_subrev_u32_e32 v13, s12, v12
	v_cmp_lt_i32_e32 vcc, -1, v13
	v_cmp_gt_i32_e64 s[2:3], s18, v13
	s_and_b64 s[2:3], vcc, s[2:3]
	s_and_saveexec_b64 s[46:47], s[2:3]
	s_cbranch_execz .LBB4_8
; %bb.10:                               ;   in Loop: Header=BB4_9 Depth=1
	v_cmp_le_i32_e64 s[52:53], v4, v10
	v_cmp_gt_i32_e32 vcc, v4, v10
	v_mov_b32_e32 v14, 4
	s_mov_b64 s[50:51], s[52:53]
	s_and_saveexec_b64 s[48:49], vcc
	s_cbranch_execz .LBB4_12
; %bb.11:                               ;   in Loop: Header=BB4_9 Depth=1
	v_mov_b32_e32 v14, s19
	v_add_co_u32_e32 v8, vcc, s13, v8
	v_addc_co_u32_e32 v9, vcc, v14, v9, vcc
	global_load_dwordx2 v[8:9], v[8:9], off
	v_mov_b32_e32 v14, 5
	s_waitcnt vmcnt(0)
	v_subrev_u32_e32 v15, s12, v8
	v_cmp_lt_i32_e64 s[2:3], -1, v15
	v_cmp_gt_i32_e64 s[6:7], s18, v15
	s_and_b64 s[2:3], s[2:3], s[6:7]
	v_cmp_ne_u32_e32 vcc, v9, v8
	s_xor_b64 s[2:3], s[2:3], -1
	s_or_b64 s[2:3], vcc, s[2:3]
	s_andn2_b64 s[6:7], s[52:53], exec
	s_and_b64 s[2:3], s[2:3], exec
	s_or_b64 s[50:51], s[6:7], s[2:3]
.LBB4_12:                               ;   in Loop: Header=BB4_9 Depth=1
	s_or_b64 exec, exec, s[48:49]
	s_mov_b64 s[2:3], -1
	s_mov_b64 s[6:7], -1
	s_and_saveexec_b64 s[48:49], s[50:51]
	s_cbranch_execz .LBB4_7
; %bb.13:                               ;   in Loop: Header=BB4_9 Depth=1
	s_and_b64 vcc, exec, s[28:29]
	s_cbranch_vccz .LBB4_29
; %bb.14:                               ;   in Loop: Header=BB4_9 Depth=1
	s_and_b64 vcc, exec, s[30:31]
	s_cbranch_vccz .LBB4_30
; %bb.15:                               ;   in Loop: Header=BB4_9 Depth=1
	s_mov_b32 s16, 0
	s_mov_b64 s[54:55], 0
	s_mov_b32 s33, s16
                                        ; implicit-def: $sgpr6_sgpr7
                                        ; implicit-def: $sgpr50_sgpr51
                                        ; implicit-def: $sgpr56_sgpr57
	s_branch .LBB4_17
.LBB4_16:                               ;   in Loop: Header=BB4_17 Depth=2
	s_or_b64 exec, exec, s[2:3]
	s_xor_b64 s[2:3], s[60:61], -1
	s_and_b64 s[58:59], exec, s[58:59]
	s_or_b64 s[54:55], s[58:59], s[54:55]
	s_andn2_b64 s[50:51], s[50:51], exec
	s_and_b64 s[58:59], s[56:57], exec
	s_andn2_b64 s[6:7], s[6:7], exec
	s_and_b64 s[2:3], s[2:3], exec
	s_or_b64 s[50:51], s[50:51], s[58:59]
	s_or_b64 s[6:7], s[6:7], s[2:3]
	s_andn2_b64 exec, exec, s[54:55]
	s_cbranch_execz .LBB4_28
.LBB4_17:                               ;   Parent Loop BB4_9 Depth=1
                                        ; =>  This Loop Header: Depth=2
                                        ;       Child Loop BB4_21 Depth 3
	s_and_b64 vcc, exec, s[0:1]
	s_mov_b64 s[58:59], -1
	s_cbranch_vccnz .LBB4_25
; %bb.18:                               ;   in Loop: Header=BB4_17 Depth=2
	s_lshl_b64 s[66:67], s[16:17], 3
	s_mov_b64 s[64:65], 0
	s_mov_b32 s80, s20
                                        ; implicit-def: $sgpr62_sgpr63
                                        ; implicit-def: $sgpr60_sgpr61
                                        ; implicit-def: $sgpr68_sgpr69
                                        ; implicit-def: $sgpr70_sgpr71
	s_branch .LBB4_21
.LBB4_19:                               ;   in Loop: Header=BB4_21 Depth=3
	s_or_b64 exec, exec, s[78:79]
	s_andn2_b64 s[70:71], s[70:71], exec
	s_and_b64 s[76:77], s[76:77], exec
	s_andn2_b64 s[68:69], s[68:69], exec
	s_and_b64 s[2:3], s[2:3], exec
	v_mov_b32_e32 v14, 2
	s_or_b64 s[70:71], s[70:71], s[76:77]
	s_or_b64 s[68:69], s[68:69], s[2:3]
.LBB4_20:                               ;   in Loop: Header=BB4_21 Depth=3
	s_or_b64 exec, exec, s[74:75]
	s_xor_b64 s[2:3], s[70:71], -1
	s_and_b64 s[74:75], exec, s[68:69]
	s_or_b64 s[64:65], s[74:75], s[64:65]
	s_andn2_b64 s[60:61], s[60:61], exec
	s_and_b64 s[72:73], s[72:73], exec
	s_andn2_b64 s[62:63], s[62:63], exec
	s_and_b64 s[2:3], s[2:3], exec
	s_or_b64 s[60:61], s[60:61], s[72:73]
	s_or_b64 s[62:63], s[62:63], s[2:3]
	s_andn2_b64 exec, exec, s[64:65]
	s_cbranch_execz .LBB4_24
.LBB4_21:                               ;   Parent Loop BB4_9 Depth=1
                                        ;     Parent Loop BB4_17 Depth=2
                                        ; =>    This Inner Loop Header: Depth=3
	v_mov_b32_e32 v9, s67
	v_add_co_u32_e32 v8, vcc, s66, v2
	v_addc_co_u32_e32 v9, vcc, v1, v9, vcc
	global_load_dwordx2 v[8:9], v[8:9], off
	s_mov_b64 s[72:73], -1
	v_mov_b32_e32 v14, 1
	s_or_b64 s[70:71], s[70:71], exec
	s_or_b64 s[68:69], s[68:69], exec
	s_waitcnt vmcnt(0)
	v_cmp_neq_f32_e32 vcc, s9, v8
	v_cmp_neq_f32_e64 s[2:3], s9, v9
	s_and_b64 s[2:3], vcc, s[2:3]
	s_and_saveexec_b64 s[74:75], s[2:3]
	s_xor_b64 s[74:75], exec, s[74:75]
	s_cbranch_execz .LBB4_20
; %bb.22:                               ;   in Loop: Header=BB4_21 Depth=3
	v_cmp_o_f32_e32 vcc, v8, v8
	v_cmp_o_f32_e64 s[2:3], v9, v9
	s_and_b64 s[82:83], vcc, s[2:3]
	s_mov_b64 s[2:3], -1
	s_mov_b64 s[76:77], -1
	s_and_saveexec_b64 s[78:79], s[82:83]
	s_cbranch_execz .LBB4_19
; %bb.23:                               ;   in Loop: Header=BB4_21 Depth=3
	s_add_i32 s80, s80, -1
	s_add_u32 s66, s66, 8
	s_addc_u32 s67, s67, 0
	s_cmp_eq_u32 s80, 0
	s_cselect_b64 s[2:3], -1, 0
	s_xor_b64 s[76:77], exec, -1
	s_orn2_b64 s[2:3], s[2:3], exec
	s_branch .LBB4_19
.LBB4_24:                               ;   in Loop: Header=BB4_17 Depth=2
	s_or_b64 exec, exec, s[64:65]
	s_branch .LBB4_26
.LBB4_25:                               ;   in Loop: Header=BB4_17 Depth=2
	s_mov_b64 s[62:63], -1
                                        ; implicit-def: $sgpr60_sgpr61
                                        ; implicit-def: $vgpr14
.LBB4_26:                               ;   in Loop: Header=BB4_17 Depth=2
	s_andn2_b64 s[2:3], s[56:57], exec
	s_and_b64 s[56:57], s[60:61], exec
	s_or_b64 s[56:57], s[2:3], s[56:57]
	s_and_saveexec_b64 s[2:3], s[62:63]
	s_cbranch_execz .LBB4_16
; %bb.27:                               ;   in Loop: Header=BB4_17 Depth=2
	s_add_i32 s33, s33, 1
	s_add_i32 s16, s16, s20
	s_cmp_eq_u32 s33, s21
	s_cselect_b64 s[58:59], -1, 0
	s_andn2_b64 s[60:61], s[60:61], exec
	s_andn2_b64 s[56:57], s[56:57], exec
	s_orn2_b64 s[58:59], s[58:59], exec
                                        ; implicit-def: $vgpr14
	s_branch .LBB4_16
.LBB4_28:                               ;   in Loop: Header=BB4_9 Depth=1
	s_or_b64 exec, exec, s[54:55]
	s_branch .LBB4_46
.LBB4_29:                               ;   in Loop: Header=BB4_9 Depth=1
	s_mov_b64 s[6:7], 0
	s_mov_b64 s[50:51], -1
	s_and_b64 vcc, exec, s[2:3]
	s_cbranch_vccnz .LBB4_31
	s_branch .LBB4_46
.LBB4_30:                               ;   in Loop: Header=BB4_9 Depth=1
	s_mov_b64 s[50:51], -1
	s_branch .LBB4_46
.LBB4_31:                               ;   in Loop: Header=BB4_9 Depth=1
	s_and_b64 vcc, exec, s[34:35]
	s_cbranch_vccz .LBB4_50
; %bb.32:                               ;   in Loop: Header=BB4_9 Depth=1
	s_mov_b32 s16, 0
	s_mov_b64 s[54:55], 0
	s_mov_b32 s33, s16
                                        ; implicit-def: $sgpr6_sgpr7
                                        ; implicit-def: $sgpr50_sgpr51
                                        ; implicit-def: $sgpr56_sgpr57
	s_branch .LBB4_34
.LBB4_33:                               ;   in Loop: Header=BB4_34 Depth=2
	s_or_b64 exec, exec, s[2:3]
	s_xor_b64 s[2:3], s[60:61], -1
	s_and_b64 s[58:59], exec, s[58:59]
	s_or_b64 s[54:55], s[58:59], s[54:55]
	s_andn2_b64 s[50:51], s[50:51], exec
	s_and_b64 s[58:59], s[56:57], exec
	s_andn2_b64 s[6:7], s[6:7], exec
	s_and_b64 s[2:3], s[2:3], exec
	s_or_b64 s[50:51], s[50:51], s[58:59]
	s_or_b64 s[6:7], s[6:7], s[2:3]
	s_andn2_b64 exec, exec, s[54:55]
	s_cbranch_execz .LBB4_45
.LBB4_34:                               ;   Parent Loop BB4_9 Depth=1
                                        ; =>  This Loop Header: Depth=2
                                        ;       Child Loop BB4_38 Depth 3
	s_andn2_b64 vcc, exec, s[30:31]
	s_mov_b64 s[58:59], -1
	s_cbranch_vccnz .LBB4_42
; %bb.35:                               ;   in Loop: Header=BB4_34 Depth=2
	s_lshl_b64 s[66:67], s[16:17], 3
	s_mov_b64 s[64:65], 0
	s_mov_b32 s80, s21
                                        ; implicit-def: $sgpr62_sgpr63
                                        ; implicit-def: $sgpr60_sgpr61
                                        ; implicit-def: $sgpr68_sgpr69
                                        ; implicit-def: $sgpr70_sgpr71
	s_branch .LBB4_38
.LBB4_36:                               ;   in Loop: Header=BB4_38 Depth=3
	s_or_b64 exec, exec, s[78:79]
	s_andn2_b64 s[70:71], s[70:71], exec
	s_and_b64 s[76:77], s[76:77], exec
	s_andn2_b64 s[68:69], s[68:69], exec
	s_and_b64 s[2:3], s[2:3], exec
	v_mov_b32_e32 v14, 2
	s_or_b64 s[70:71], s[70:71], s[76:77]
	s_or_b64 s[68:69], s[68:69], s[2:3]
.LBB4_37:                               ;   in Loop: Header=BB4_38 Depth=3
	s_or_b64 exec, exec, s[74:75]
	s_xor_b64 s[2:3], s[70:71], -1
	s_and_b64 s[74:75], exec, s[68:69]
	s_or_b64 s[64:65], s[74:75], s[64:65]
	s_andn2_b64 s[60:61], s[60:61], exec
	s_and_b64 s[72:73], s[72:73], exec
	s_andn2_b64 s[62:63], s[62:63], exec
	s_and_b64 s[2:3], s[2:3], exec
	s_or_b64 s[60:61], s[60:61], s[72:73]
	s_or_b64 s[62:63], s[62:63], s[2:3]
	s_andn2_b64 exec, exec, s[64:65]
	s_cbranch_execz .LBB4_41
.LBB4_38:                               ;   Parent Loop BB4_9 Depth=1
                                        ;     Parent Loop BB4_34 Depth=2
                                        ; =>    This Inner Loop Header: Depth=3
	v_mov_b32_e32 v9, s67
	v_add_co_u32_e32 v8, vcc, s66, v2
	v_addc_co_u32_e32 v9, vcc, v1, v9, vcc
	global_load_dwordx2 v[8:9], v[8:9], off
	s_mov_b64 s[72:73], -1
	v_mov_b32_e32 v14, 1
	s_or_b64 s[70:71], s[70:71], exec
	s_or_b64 s[68:69], s[68:69], exec
	s_waitcnt vmcnt(0)
	v_cmp_neq_f32_e32 vcc, s9, v8
	v_cmp_neq_f32_e64 s[2:3], s9, v9
	s_and_b64 s[2:3], vcc, s[2:3]
	s_and_saveexec_b64 s[74:75], s[2:3]
	s_xor_b64 s[74:75], exec, s[74:75]
	s_cbranch_execz .LBB4_37
; %bb.39:                               ;   in Loop: Header=BB4_38 Depth=3
	v_cmp_o_f32_e32 vcc, v8, v8
	v_cmp_o_f32_e64 s[2:3], v9, v9
	s_and_b64 s[82:83], vcc, s[2:3]
	s_mov_b64 s[2:3], -1
	s_mov_b64 s[76:77], -1
	s_and_saveexec_b64 s[78:79], s[82:83]
	s_cbranch_execz .LBB4_36
; %bb.40:                               ;   in Loop: Header=BB4_38 Depth=3
	s_add_i32 s80, s80, -1
	s_add_u32 s66, s66, 8
	s_addc_u32 s67, s67, 0
	s_cmp_eq_u32 s80, 0
	s_cselect_b64 s[2:3], -1, 0
	s_xor_b64 s[76:77], exec, -1
	s_orn2_b64 s[2:3], s[2:3], exec
	s_branch .LBB4_36
.LBB4_41:                               ;   in Loop: Header=BB4_34 Depth=2
	s_or_b64 exec, exec, s[64:65]
	s_branch .LBB4_43
.LBB4_42:                               ;   in Loop: Header=BB4_34 Depth=2
	s_mov_b64 s[62:63], -1
                                        ; implicit-def: $sgpr60_sgpr61
                                        ; implicit-def: $vgpr14
.LBB4_43:                               ;   in Loop: Header=BB4_34 Depth=2
	s_andn2_b64 s[2:3], s[56:57], exec
	s_and_b64 s[56:57], s[60:61], exec
	s_or_b64 s[56:57], s[2:3], s[56:57]
	s_and_saveexec_b64 s[2:3], s[62:63]
	s_cbranch_execz .LBB4_33
; %bb.44:                               ;   in Loop: Header=BB4_34 Depth=2
	s_add_i32 s33, s33, 1
	s_add_i32 s16, s16, s21
	s_cmp_eq_u32 s33, s20
	s_cselect_b64 s[58:59], -1, 0
	s_andn2_b64 s[60:61], s[60:61], exec
	s_andn2_b64 s[56:57], s[56:57], exec
	s_orn2_b64 s[58:59], s[58:59], exec
                                        ; implicit-def: $vgpr14
	s_branch .LBB4_33
.LBB4_45:                               ;   in Loop: Header=BB4_9 Depth=1
	s_or_b64 exec, exec, s[54:55]
.LBB4_46:                               ;   in Loop: Header=BB4_9 Depth=1
	s_mov_b64 s[2:3], -1
	s_and_saveexec_b64 s[54:55], s[6:7]
	s_cbranch_execz .LBB4_6
.LBB4_47:                               ;   in Loop: Header=BB4_9 Depth=1
	s_and_b64 vcc, exec, s[36:37]
	s_cbranch_vccz .LBB4_51
; %bb.48:                               ;   in Loop: Header=BB4_9 Depth=1
	s_and_b64 vcc, exec, s[38:39]
	s_cbranch_vccz .LBB4_52
; %bb.49:                               ;   in Loop: Header=BB4_9 Depth=1
	v_cmp_le_i32_e32 vcc, v0, v13
	v_mov_b32_e32 v14, 7
	s_or_b64 s[56:57], s[50:51], exec
	s_and_b64 s[6:7], vcc, exec
	s_cbranch_execz .LBB4_53
	s_branch .LBB4_54
.LBB4_50:                               ;   in Loop: Header=BB4_9 Depth=1
	s_mov_b64 s[6:7], -1
	s_mov_b64 s[2:3], -1
	s_and_saveexec_b64 s[54:55], s[6:7]
	s_cbranch_execz .LBB4_6
	s_branch .LBB4_47
.LBB4_51:                               ;   in Loop: Header=BB4_9 Depth=1
	s_mov_b64 s[6:7], -1
	s_mov_b64 s[56:57], s[50:51]
	s_branch .LBB4_54
.LBB4_52:                               ;   in Loop: Header=BB4_9 Depth=1
	s_mov_b64 s[6:7], 0
	s_mov_b64 s[56:57], s[50:51]
.LBB4_53:                               ;   in Loop: Header=BB4_9 Depth=1
	v_cmp_ge_i32_e32 vcc, v0, v13
	s_andn2_b64 s[6:7], s[6:7], exec
	s_and_b64 s[58:59], vcc, exec
	v_mov_b32_e32 v14, 7
	s_or_b64 s[56:57], s[56:57], exec
	s_or_b64 s[6:7], s[6:7], s[58:59]
.LBB4_54:                               ;   in Loop: Header=BB4_9 Depth=1
	s_and_saveexec_b64 s[58:59], s[6:7]
	s_cbranch_execz .LBB4_5
; %bb.55:                               ;   in Loop: Header=BB4_9 Depth=1
	s_or_b64 s[60:61], s[14:15], s[52:53]
	s_xor_b64 s[2:3], s[60:61], -1
	s_mov_b64 s[52:53], s[56:57]
	s_and_saveexec_b64 s[62:63], s[2:3]
	s_cbranch_execz .LBB4_57
; %bb.56:                               ;   in Loop: Header=BB4_9 Depth=1
	global_load_dword v6, v[6:7], off offset:-4
	v_mov_b32_e32 v14, 6
	s_or_b64 s[52:53], s[56:57], exec
	s_waitcnt vmcnt(0)
	v_subrev_u32_e32 v7, s12, v6
	v_cmp_lt_i32_e64 s[2:3], -1, v7
	v_cmp_gt_i32_e64 s[6:7], s18, v7
	s_and_b64 s[2:3], s[2:3], s[6:7]
	v_cmp_gt_i32_e32 vcc, v12, v6
	s_xor_b64 s[2:3], s[2:3], -1
	s_or_b64 s[2:3], vcc, s[2:3]
	s_andn2_b64 s[6:7], s[60:61], exec
	s_and_b64 s[2:3], s[2:3], exec
	s_or_b64 s[60:61], s[6:7], s[2:3]
.LBB4_57:                               ;   in Loop: Header=BB4_9 Depth=1
	s_or_b64 exec, exec, s[62:63]
	s_mov_b64 s[2:3], -1
	s_and_saveexec_b64 s[6:7], s[60:61]
	s_cbranch_execz .LBB4_4
; %bb.58:                               ;   in Loop: Header=BB4_9 Depth=1
	v_mov_b32_e32 v6, s23
	v_add_co_u32_e32 v2, vcc, s22, v2
	v_add_u32_e32 v4, 1, v4
	v_addc_co_u32_e32 v1, vcc, v1, v6, vcc
	v_cmp_ge_i32_e32 vcc, v4, v11
	s_andn2_b64 s[52:53], s[52:53], exec
	s_orn2_b64 s[2:3], vcc, exec
                                        ; implicit-def: $vgpr14
	s_branch .LBB4_4
.LBB4_59:
	s_or_b64 exec, exec, s[10:11]
	s_and_b64 s[0:1], s[40:41], exec
.LBB4_60:
	s_or_b64 exec, exec, s[26:27]
	s_orn2_b64 s[6:7], s[0:1], exec
.LBB4_61:
	s_or_b64 exec, exec, s[24:25]
	s_and_b64 exec, exec, s[6:7]
	s_cbranch_execz .LBB4_63
; %bb.62:
	s_load_dwordx2 s[0:1], s[4:5], 0x48
	v_mov_b32_e32 v0, 0
	s_waitcnt lgkmcnt(0)
	global_store_dword v0, v14, s[0:1]
.LBB4_63:
	s_endpgm
	.section	.rodata,"a",@progbits
	.p2align	6, 0x0
	.amdhsa_kernel _ZN9rocsparseL25check_matrix_gebsr_deviceILj256E21rocsparse_complex_numIfEiiEEv20rocsparse_direction_T2_S4_T1_S4_S4_PKT0_PKS5_PKS4_SC_21rocsparse_index_base_22rocsparse_matrix_type_20rocsparse_fill_mode_23rocsparse_storage_mode_P22rocsparse_data_status_
		.amdhsa_group_segment_fixed_size 0
		.amdhsa_private_segment_fixed_size 0
		.amdhsa_kernarg_size 80
		.amdhsa_user_sgpr_count 6
		.amdhsa_user_sgpr_private_segment_buffer 1
		.amdhsa_user_sgpr_dispatch_ptr 0
		.amdhsa_user_sgpr_queue_ptr 0
		.amdhsa_user_sgpr_kernarg_segment_ptr 1
		.amdhsa_user_sgpr_dispatch_id 0
		.amdhsa_user_sgpr_flat_scratch_init 0
		.amdhsa_user_sgpr_kernarg_preload_length 0
		.amdhsa_user_sgpr_kernarg_preload_offset 0
		.amdhsa_user_sgpr_private_segment_size 0
		.amdhsa_uses_dynamic_stack 0
		.amdhsa_system_sgpr_private_segment_wavefront_offset 0
		.amdhsa_system_sgpr_workgroup_id_x 1
		.amdhsa_system_sgpr_workgroup_id_y 0
		.amdhsa_system_sgpr_workgroup_id_z 0
		.amdhsa_system_sgpr_workgroup_info 0
		.amdhsa_system_vgpr_workitem_id 0
		.amdhsa_next_free_vgpr 16
		.amdhsa_next_free_sgpr 84
		.amdhsa_accum_offset 16
		.amdhsa_reserve_vcc 1
		.amdhsa_reserve_flat_scratch 0
		.amdhsa_float_round_mode_32 0
		.amdhsa_float_round_mode_16_64 0
		.amdhsa_float_denorm_mode_32 3
		.amdhsa_float_denorm_mode_16_64 3
		.amdhsa_dx10_clamp 1
		.amdhsa_ieee_mode 1
		.amdhsa_fp16_overflow 0
		.amdhsa_tg_split 0
		.amdhsa_exception_fp_ieee_invalid_op 0
		.amdhsa_exception_fp_denorm_src 0
		.amdhsa_exception_fp_ieee_div_zero 0
		.amdhsa_exception_fp_ieee_overflow 0
		.amdhsa_exception_fp_ieee_underflow 0
		.amdhsa_exception_fp_ieee_inexact 0
		.amdhsa_exception_int_div_zero 0
	.end_amdhsa_kernel
	.section	.text._ZN9rocsparseL25check_matrix_gebsr_deviceILj256E21rocsparse_complex_numIfEiiEEv20rocsparse_direction_T2_S4_T1_S4_S4_PKT0_PKS5_PKS4_SC_21rocsparse_index_base_22rocsparse_matrix_type_20rocsparse_fill_mode_23rocsparse_storage_mode_P22rocsparse_data_status_,"axG",@progbits,_ZN9rocsparseL25check_matrix_gebsr_deviceILj256E21rocsparse_complex_numIfEiiEEv20rocsparse_direction_T2_S4_T1_S4_S4_PKT0_PKS5_PKS4_SC_21rocsparse_index_base_22rocsparse_matrix_type_20rocsparse_fill_mode_23rocsparse_storage_mode_P22rocsparse_data_status_,comdat
.Lfunc_end4:
	.size	_ZN9rocsparseL25check_matrix_gebsr_deviceILj256E21rocsparse_complex_numIfEiiEEv20rocsparse_direction_T2_S4_T1_S4_S4_PKT0_PKS5_PKS4_SC_21rocsparse_index_base_22rocsparse_matrix_type_20rocsparse_fill_mode_23rocsparse_storage_mode_P22rocsparse_data_status_, .Lfunc_end4-_ZN9rocsparseL25check_matrix_gebsr_deviceILj256E21rocsparse_complex_numIfEiiEEv20rocsparse_direction_T2_S4_T1_S4_S4_PKT0_PKS5_PKS4_SC_21rocsparse_index_base_22rocsparse_matrix_type_20rocsparse_fill_mode_23rocsparse_storage_mode_P22rocsparse_data_status_
                                        ; -- End function
	.section	.AMDGPU.csdata,"",@progbits
; Kernel info:
; codeLenInByte = 1764
; NumSgprs: 88
; NumVgprs: 16
; NumAgprs: 0
; TotalNumVgprs: 16
; ScratchSize: 0
; MemoryBound: 0
; FloatMode: 240
; IeeeMode: 1
; LDSByteSize: 0 bytes/workgroup (compile time only)
; SGPRBlocks: 10
; VGPRBlocks: 1
; NumSGPRsForWavesPerEU: 88
; NumVGPRsForWavesPerEU: 16
; AccumOffset: 16
; Occupancy: 8
; WaveLimiterHint : 0
; COMPUTE_PGM_RSRC2:SCRATCH_EN: 0
; COMPUTE_PGM_RSRC2:USER_SGPR: 6
; COMPUTE_PGM_RSRC2:TRAP_HANDLER: 0
; COMPUTE_PGM_RSRC2:TGID_X_EN: 1
; COMPUTE_PGM_RSRC2:TGID_Y_EN: 0
; COMPUTE_PGM_RSRC2:TGID_Z_EN: 0
; COMPUTE_PGM_RSRC2:TIDIG_COMP_CNT: 0
; COMPUTE_PGM_RSRC3_GFX90A:ACCUM_OFFSET: 3
; COMPUTE_PGM_RSRC3_GFX90A:TG_SPLIT: 0
	.section	.text._ZN9rocsparseL25check_matrix_gebsr_deviceILj256E21rocsparse_complex_numIdEiiEEv20rocsparse_direction_T2_S4_T1_S4_S4_PKT0_PKS5_PKS4_SC_21rocsparse_index_base_22rocsparse_matrix_type_20rocsparse_fill_mode_23rocsparse_storage_mode_P22rocsparse_data_status_,"axG",@progbits,_ZN9rocsparseL25check_matrix_gebsr_deviceILj256E21rocsparse_complex_numIdEiiEEv20rocsparse_direction_T2_S4_T1_S4_S4_PKT0_PKS5_PKS4_SC_21rocsparse_index_base_22rocsparse_matrix_type_20rocsparse_fill_mode_23rocsparse_storage_mode_P22rocsparse_data_status_,comdat
	.globl	_ZN9rocsparseL25check_matrix_gebsr_deviceILj256E21rocsparse_complex_numIdEiiEEv20rocsparse_direction_T2_S4_T1_S4_S4_PKT0_PKS5_PKS4_SC_21rocsparse_index_base_22rocsparse_matrix_type_20rocsparse_fill_mode_23rocsparse_storage_mode_P22rocsparse_data_status_ ; -- Begin function _ZN9rocsparseL25check_matrix_gebsr_deviceILj256E21rocsparse_complex_numIdEiiEEv20rocsparse_direction_T2_S4_T1_S4_S4_PKT0_PKS5_PKS4_SC_21rocsparse_index_base_22rocsparse_matrix_type_20rocsparse_fill_mode_23rocsparse_storage_mode_P22rocsparse_data_status_
	.p2align	8
	.type	_ZN9rocsparseL25check_matrix_gebsr_deviceILj256E21rocsparse_complex_numIdEiiEEv20rocsparse_direction_T2_S4_T1_S4_S4_PKT0_PKS5_PKS4_SC_21rocsparse_index_base_22rocsparse_matrix_type_20rocsparse_fill_mode_23rocsparse_storage_mode_P22rocsparse_data_status_,@function
_ZN9rocsparseL25check_matrix_gebsr_deviceILj256E21rocsparse_complex_numIdEiiEEv20rocsparse_direction_T2_S4_T1_S4_S4_PKT0_PKS5_PKS4_SC_21rocsparse_index_base_22rocsparse_matrix_type_20rocsparse_fill_mode_23rocsparse_storage_mode_P22rocsparse_data_status_: ; @_ZN9rocsparseL25check_matrix_gebsr_deviceILj256E21rocsparse_complex_numIdEiiEEv20rocsparse_direction_T2_S4_T1_S4_S4_PKT0_PKS5_PKS4_SC_21rocsparse_index_base_22rocsparse_matrix_type_20rocsparse_fill_mode_23rocsparse_storage_mode_P22rocsparse_data_status_
; %bb.0:
	s_load_dwordx4 s[16:19], s[4:5], 0x0
	v_lshl_or_b32 v4, s6, 8, v0
	s_waitcnt lgkmcnt(0)
	v_cmp_gt_i32_e32 vcc, s17, v4
	s_and_saveexec_b64 s[0:1], vcc
	s_cbranch_execz .LBB5_63
; %bb.1:
	s_load_dwordx2 s[0:1], s[4:5], 0x20
	v_ashrrev_i32_e32 v5, 31, v4
	v_lshlrev_b64 v[0:1], 2, v[4:5]
	s_mov_b64 s[6:7], -1
	v_mov_b32_e32 v16, 3
	s_waitcnt lgkmcnt(0)
	v_mov_b32_e32 v2, s1
	v_add_co_u32_e32 v0, vcc, s0, v0
	v_addc_co_u32_e32 v1, vcc, v2, v1, vcc
	global_load_dwordx2 v[0:1], v[0:1], off
	s_load_dword s0, s[0:1], 0x0
	s_waitcnt vmcnt(0) lgkmcnt(0)
	v_subrev_u32_e32 v12, s0, v1
	v_cmp_lt_i32_e32 vcc, v1, v0
	v_cmp_gt_i32_e64 s[2:3], 0, v12
	v_subrev_u32_e32 v7, s0, v0
	s_or_b64 s[2:3], s[2:3], vcc
	v_cmp_lt_i32_e64 s[0:1], -1, v7
	s_xor_b64 s[2:3], s[2:3], -1
	s_and_b64 s[0:1], s[0:1], s[2:3]
	s_and_saveexec_b64 s[24:25], s[0:1]
	s_cbranch_execz .LBB5_61
; %bb.2:
	v_cmp_lt_i32_e32 vcc, v0, v1
	s_mov_b64 s[0:1], 0
	v_mov_b32_e32 v16, 3
	s_and_saveexec_b64 s[26:27], vcc
	s_cbranch_execz .LBB5_60
; %bb.3:
	s_load_dwordx4 s[20:23], s[4:5], 0x10
	s_load_dwordx8 s[8:15], s[4:5], 0x28
	s_cmp_lg_u32 s16, 0
	s_cselect_b64 s[28:29], -1, 0
	s_mov_b32 s40, 0
	s_waitcnt lgkmcnt(0)
	s_mul_i32 s0, s21, s20
	s_cmp_gt_i32 s21, 0
	v_mad_u64_u32 v[0:1], s[2:3], s0, v7, 0
	s_cselect_b64 s[30:31], -1, 0
	s_cmp_gt_i32 s20, 0
	s_mul_hi_i32 s1, s21, s20
	v_mov_b32_e32 v2, v1
	s_cselect_b64 s[34:35], -1, 0
	s_cmp_lg_u32 s13, 0
	v_mad_u64_u32 v[2:3], s[2:3], s1, v7, v[2:3]
	s_cselect_b64 s[36:37], -1, 0
	s_cmp_lg_u32 s14, 0
	v_mov_b32_e32 v1, v2
	s_cselect_b64 s[38:39], -1, 0
	s_cmp_lg_u32 s15, 0
	v_lshlrev_b64 v[0:1], 4, v[0:1]
	s_cselect_b64 s[14:15], -1, 0
	s_add_u32 s13, s10, -4
	v_mov_b32_e32 v2, s23
	v_add_co_u32_e32 v6, vcc, s22, v0
	v_cndmask_b32_e64 v0, 0, 1, s[34:35]
	s_mov_b32 s17, 0
	s_addc_u32 s19, s11, -1
	v_addc_co_u32_e32 v5, vcc, v2, v1, vcc
	s_lshl_b64 s[22:23], s[0:1], 4
	s_mov_b64 s[10:11], 0
	v_mov_b32_e32 v9, 0
	v_mov_b32_e32 v13, s9
	s_mov_b32 s41, 0x7ff00000
	v_cmp_ne_u32_e64 s[0:1], 1, v0
	v_mov_b32_e32 v8, v7
                                        ; implicit-def: $sgpr42_sgpr43
                                        ; implicit-def: $sgpr44_sgpr45
                                        ; implicit-def: $sgpr46_sgpr47
	s_branch .LBB5_9
.LBB5_4:                                ;   in Loop: Header=BB5_9 Depth=1
	s_or_b64 exec, exec, s[6:7]
	s_andn2_b64 s[6:7], s[58:59], exec
	s_and_b64 s[54:55], s[54:55], exec
	s_or_b64 s[58:59], s[6:7], s[54:55]
	s_orn2_b64 s[2:3], s[2:3], exec
.LBB5_5:                                ;   in Loop: Header=BB5_9 Depth=1
	s_or_b64 exec, exec, s[60:61]
	s_andn2_b64 s[6:7], s[52:53], exec
	s_and_b64 s[52:53], s[58:59], exec
	s_or_b64 s[52:53], s[6:7], s[52:53]
	s_orn2_b64 s[2:3], s[2:3], exec
.LBB5_6:                                ;   in Loop: Header=BB5_9 Depth=1
	s_or_b64 exec, exec, s[56:57]
	s_orn2_b64 s[6:7], s[52:53], exec
	s_orn2_b64 s[2:3], s[2:3], exec
.LBB5_7:                                ;   in Loop: Header=BB5_9 Depth=1
	s_or_b64 exec, exec, s[50:51]
	s_andn2_b64 s[46:47], s[46:47], exec
	s_and_b64 s[6:7], s[6:7], exec
	s_or_b64 s[46:47], s[46:47], s[6:7]
	s_andn2_b64 s[6:7], s[44:45], exec
	s_and_b64 s[2:3], s[2:3], exec
	s_or_b64 s[44:45], s[6:7], s[2:3]
.LBB5_8:                                ;   in Loop: Header=BB5_9 Depth=1
	s_or_b64 exec, exec, s[48:49]
	s_and_b64 s[2:3], exec, s[44:45]
	s_or_b64 s[10:11], s[2:3], s[10:11]
	s_andn2_b64 s[2:3], s[42:43], exec
	s_and_b64 s[6:7], s[46:47], exec
	s_or_b64 s[42:43], s[2:3], s[6:7]
	s_andn2_b64 exec, exec, s[10:11]
	s_cbranch_execz .LBB5_59
.LBB5_9:                                ; =>This Loop Header: Depth=1
                                        ;     Child Loop BB5_34 Depth 2
                                        ;       Child Loop BB5_38 Depth 3
                                        ;     Child Loop BB5_17 Depth 2
                                        ;       Child Loop BB5_21 Depth 3
	v_lshlrev_b64 v[0:1], 2, v[8:9]
	v_add_co_u32_e32 v10, vcc, s8, v0
	v_addc_co_u32_e32 v11, vcc, v13, v1, vcc
	global_load_dword v14, v[10:11], off
	v_mov_b32_e32 v16, 4
	s_or_b64 s[46:47], s[46:47], exec
	s_or_b64 s[44:45], s[44:45], exec
	s_waitcnt vmcnt(0)
	v_subrev_u32_e32 v15, s12, v14
	v_cmp_lt_i32_e32 vcc, -1, v15
	v_cmp_gt_i32_e64 s[2:3], s18, v15
	s_and_b64 s[2:3], vcc, s[2:3]
	s_and_saveexec_b64 s[48:49], s[2:3]
	s_cbranch_execz .LBB5_8
; %bb.10:                               ;   in Loop: Header=BB5_9 Depth=1
	v_cmp_le_i32_e64 s[54:55], v8, v7
	v_cmp_gt_i32_e32 vcc, v8, v7
	v_mov_b32_e32 v16, 4
	s_mov_b64 s[52:53], s[54:55]
	s_and_saveexec_b64 s[50:51], vcc
	s_cbranch_execz .LBB5_12
; %bb.11:                               ;   in Loop: Header=BB5_9 Depth=1
	v_mov_b32_e32 v2, s19
	v_add_co_u32_e32 v0, vcc, s13, v0
	v_addc_co_u32_e32 v1, vcc, v2, v1, vcc
	global_load_dwordx2 v[0:1], v[0:1], off
	v_mov_b32_e32 v16, 5
	s_waitcnt vmcnt(0)
	v_subrev_u32_e32 v2, s12, v0
	v_cmp_lt_i32_e64 s[2:3], -1, v2
	v_cmp_gt_i32_e64 s[6:7], s18, v2
	s_and_b64 s[2:3], s[2:3], s[6:7]
	v_cmp_ne_u32_e32 vcc, v1, v0
	s_xor_b64 s[2:3], s[2:3], -1
	s_or_b64 s[2:3], vcc, s[2:3]
	s_andn2_b64 s[6:7], s[54:55], exec
	s_and_b64 s[2:3], s[2:3], exec
	s_or_b64 s[52:53], s[6:7], s[2:3]
.LBB5_12:                               ;   in Loop: Header=BB5_9 Depth=1
	s_or_b64 exec, exec, s[50:51]
	s_mov_b64 s[2:3], -1
	s_mov_b64 s[6:7], -1
	s_and_saveexec_b64 s[50:51], s[52:53]
	s_cbranch_execz .LBB5_7
; %bb.13:                               ;   in Loop: Header=BB5_9 Depth=1
	s_and_b64 vcc, exec, s[28:29]
	s_cbranch_vccz .LBB5_29
; %bb.14:                               ;   in Loop: Header=BB5_9 Depth=1
	s_and_b64 vcc, exec, s[30:31]
	s_cbranch_vccz .LBB5_30
; %bb.15:                               ;   in Loop: Header=BB5_9 Depth=1
	s_mov_b32 s16, 0
	s_mov_b64 s[56:57], 0
	s_mov_b32 s9, s16
                                        ; implicit-def: $sgpr6_sgpr7
                                        ; implicit-def: $sgpr52_sgpr53
                                        ; implicit-def: $sgpr58_sgpr59
	s_branch .LBB5_17
.LBB5_16:                               ;   in Loop: Header=BB5_17 Depth=2
	s_or_b64 exec, exec, s[2:3]
	s_xor_b64 s[2:3], s[62:63], -1
	s_and_b64 s[60:61], exec, s[60:61]
	s_or_b64 s[56:57], s[60:61], s[56:57]
	s_andn2_b64 s[52:53], s[52:53], exec
	s_and_b64 s[60:61], s[58:59], exec
	s_andn2_b64 s[6:7], s[6:7], exec
	s_and_b64 s[2:3], s[2:3], exec
	s_or_b64 s[52:53], s[52:53], s[60:61]
	s_or_b64 s[6:7], s[6:7], s[2:3]
	s_andn2_b64 exec, exec, s[56:57]
	s_cbranch_execz .LBB5_28
.LBB5_17:                               ;   Parent Loop BB5_9 Depth=1
                                        ; =>  This Loop Header: Depth=2
                                        ;       Child Loop BB5_21 Depth 3
	s_and_b64 vcc, exec, s[0:1]
	s_mov_b64 s[60:61], -1
	s_cbranch_vccnz .LBB5_25
; %bb.18:                               ;   in Loop: Header=BB5_17 Depth=2
	s_lshl_b64 s[68:69], s[16:17], 4
	s_mov_b64 s[66:67], 0
	s_mov_b32 s33, s20
                                        ; implicit-def: $sgpr64_sgpr65
                                        ; implicit-def: $sgpr62_sgpr63
                                        ; implicit-def: $sgpr70_sgpr71
                                        ; implicit-def: $sgpr72_sgpr73
	s_branch .LBB5_21
.LBB5_19:                               ;   in Loop: Header=BB5_21 Depth=3
	s_or_b64 exec, exec, s[80:81]
	s_andn2_b64 s[72:73], s[72:73], exec
	s_and_b64 s[78:79], s[78:79], exec
	s_andn2_b64 s[70:71], s[70:71], exec
	s_and_b64 s[2:3], s[2:3], exec
	v_mov_b32_e32 v16, 2
	s_or_b64 s[72:73], s[72:73], s[78:79]
	s_or_b64 s[70:71], s[70:71], s[2:3]
.LBB5_20:                               ;   in Loop: Header=BB5_21 Depth=3
	s_or_b64 exec, exec, s[76:77]
	s_xor_b64 s[2:3], s[72:73], -1
	s_and_b64 s[76:77], exec, s[70:71]
	s_or_b64 s[66:67], s[76:77], s[66:67]
	s_andn2_b64 s[62:63], s[62:63], exec
	s_and_b64 s[74:75], s[74:75], exec
	s_andn2_b64 s[64:65], s[64:65], exec
	s_and_b64 s[2:3], s[2:3], exec
	s_or_b64 s[62:63], s[62:63], s[74:75]
	s_or_b64 s[64:65], s[64:65], s[2:3]
	s_andn2_b64 exec, exec, s[66:67]
	s_cbranch_execz .LBB5_24
.LBB5_21:                               ;   Parent Loop BB5_9 Depth=1
                                        ;     Parent Loop BB5_17 Depth=2
                                        ; =>    This Inner Loop Header: Depth=3
	v_mov_b32_e32 v1, s69
	v_add_co_u32_e32 v0, vcc, s68, v6
	v_addc_co_u32_e32 v1, vcc, v5, v1, vcc
	global_load_dwordx4 v[0:3], v[0:1], off
	s_mov_b64 s[74:75], -1
	v_mov_b32_e32 v16, 1
	s_or_b64 s[72:73], s[72:73], exec
	s_or_b64 s[70:71], s[70:71], exec
	s_waitcnt vmcnt(0)
	v_cmp_neq_f64_e32 vcc, s[40:41], v[0:1]
	v_cmp_neq_f64_e64 s[2:3], s[40:41], v[2:3]
	s_and_b64 s[2:3], vcc, s[2:3]
	s_and_saveexec_b64 s[76:77], s[2:3]
	s_xor_b64 s[76:77], exec, s[76:77]
	s_cbranch_execz .LBB5_20
; %bb.22:                               ;   in Loop: Header=BB5_21 Depth=3
	v_cmp_o_f64_e32 vcc, v[0:1], v[0:1]
	v_cmp_o_f64_e64 s[2:3], v[2:3], v[2:3]
	s_and_b64 s[82:83], vcc, s[2:3]
	s_mov_b64 s[2:3], -1
	s_mov_b64 s[78:79], -1
	s_and_saveexec_b64 s[80:81], s[82:83]
	s_cbranch_execz .LBB5_19
; %bb.23:                               ;   in Loop: Header=BB5_21 Depth=3
	s_add_i32 s33, s33, -1
	s_add_u32 s68, s68, 16
	s_addc_u32 s69, s69, 0
	s_cmp_eq_u32 s33, 0
	s_cselect_b64 s[2:3], -1, 0
	s_xor_b64 s[78:79], exec, -1
	s_orn2_b64 s[2:3], s[2:3], exec
	s_branch .LBB5_19
.LBB5_24:                               ;   in Loop: Header=BB5_17 Depth=2
	s_or_b64 exec, exec, s[66:67]
	s_branch .LBB5_26
.LBB5_25:                               ;   in Loop: Header=BB5_17 Depth=2
	s_mov_b64 s[64:65], -1
                                        ; implicit-def: $sgpr62_sgpr63
                                        ; implicit-def: $vgpr16
.LBB5_26:                               ;   in Loop: Header=BB5_17 Depth=2
	s_andn2_b64 s[2:3], s[58:59], exec
	s_and_b64 s[58:59], s[62:63], exec
	s_or_b64 s[58:59], s[2:3], s[58:59]
	s_and_saveexec_b64 s[2:3], s[64:65]
	s_cbranch_execz .LBB5_16
; %bb.27:                               ;   in Loop: Header=BB5_17 Depth=2
	s_add_i32 s9, s9, 1
	s_add_i32 s16, s16, s20
	s_cmp_eq_u32 s9, s21
	s_cselect_b64 s[60:61], -1, 0
	s_andn2_b64 s[62:63], s[62:63], exec
	s_andn2_b64 s[58:59], s[58:59], exec
	s_orn2_b64 s[60:61], s[60:61], exec
                                        ; implicit-def: $vgpr16
	s_branch .LBB5_16
.LBB5_28:                               ;   in Loop: Header=BB5_9 Depth=1
	s_or_b64 exec, exec, s[56:57]
	s_branch .LBB5_46
.LBB5_29:                               ;   in Loop: Header=BB5_9 Depth=1
	s_mov_b64 s[6:7], 0
	s_mov_b64 s[52:53], -1
	s_and_b64 vcc, exec, s[2:3]
	s_cbranch_vccnz .LBB5_31
	s_branch .LBB5_46
.LBB5_30:                               ;   in Loop: Header=BB5_9 Depth=1
	s_mov_b64 s[52:53], -1
	s_branch .LBB5_46
.LBB5_31:                               ;   in Loop: Header=BB5_9 Depth=1
	s_and_b64 vcc, exec, s[34:35]
	s_cbranch_vccz .LBB5_50
; %bb.32:                               ;   in Loop: Header=BB5_9 Depth=1
	s_mov_b32 s16, 0
	s_mov_b64 s[56:57], 0
	s_mov_b32 s9, s16
                                        ; implicit-def: $sgpr6_sgpr7
                                        ; implicit-def: $sgpr52_sgpr53
                                        ; implicit-def: $sgpr58_sgpr59
	s_branch .LBB5_34
.LBB5_33:                               ;   in Loop: Header=BB5_34 Depth=2
	s_or_b64 exec, exec, s[2:3]
	s_xor_b64 s[2:3], s[62:63], -1
	s_and_b64 s[60:61], exec, s[60:61]
	s_or_b64 s[56:57], s[60:61], s[56:57]
	s_andn2_b64 s[52:53], s[52:53], exec
	s_and_b64 s[60:61], s[58:59], exec
	s_andn2_b64 s[6:7], s[6:7], exec
	s_and_b64 s[2:3], s[2:3], exec
	s_or_b64 s[52:53], s[52:53], s[60:61]
	s_or_b64 s[6:7], s[6:7], s[2:3]
	s_andn2_b64 exec, exec, s[56:57]
	s_cbranch_execz .LBB5_45
.LBB5_34:                               ;   Parent Loop BB5_9 Depth=1
                                        ; =>  This Loop Header: Depth=2
                                        ;       Child Loop BB5_38 Depth 3
	s_andn2_b64 vcc, exec, s[30:31]
	s_mov_b64 s[60:61], -1
	s_cbranch_vccnz .LBB5_42
; %bb.35:                               ;   in Loop: Header=BB5_34 Depth=2
	s_lshl_b64 s[68:69], s[16:17], 4
	s_mov_b64 s[66:67], 0
	s_mov_b32 s33, s21
                                        ; implicit-def: $sgpr64_sgpr65
                                        ; implicit-def: $sgpr62_sgpr63
                                        ; implicit-def: $sgpr70_sgpr71
                                        ; implicit-def: $sgpr72_sgpr73
	s_branch .LBB5_38
.LBB5_36:                               ;   in Loop: Header=BB5_38 Depth=3
	s_or_b64 exec, exec, s[80:81]
	s_andn2_b64 s[72:73], s[72:73], exec
	s_and_b64 s[78:79], s[78:79], exec
	s_andn2_b64 s[70:71], s[70:71], exec
	s_and_b64 s[2:3], s[2:3], exec
	v_mov_b32_e32 v16, 2
	s_or_b64 s[72:73], s[72:73], s[78:79]
	s_or_b64 s[70:71], s[70:71], s[2:3]
.LBB5_37:                               ;   in Loop: Header=BB5_38 Depth=3
	s_or_b64 exec, exec, s[76:77]
	s_xor_b64 s[2:3], s[72:73], -1
	s_and_b64 s[76:77], exec, s[70:71]
	s_or_b64 s[66:67], s[76:77], s[66:67]
	s_andn2_b64 s[62:63], s[62:63], exec
	s_and_b64 s[74:75], s[74:75], exec
	s_andn2_b64 s[64:65], s[64:65], exec
	s_and_b64 s[2:3], s[2:3], exec
	s_or_b64 s[62:63], s[62:63], s[74:75]
	s_or_b64 s[64:65], s[64:65], s[2:3]
	s_andn2_b64 exec, exec, s[66:67]
	s_cbranch_execz .LBB5_41
.LBB5_38:                               ;   Parent Loop BB5_9 Depth=1
                                        ;     Parent Loop BB5_34 Depth=2
                                        ; =>    This Inner Loop Header: Depth=3
	v_mov_b32_e32 v1, s69
	v_add_co_u32_e32 v0, vcc, s68, v6
	v_addc_co_u32_e32 v1, vcc, v5, v1, vcc
	global_load_dwordx4 v[0:3], v[0:1], off
	s_mov_b64 s[74:75], -1
	v_mov_b32_e32 v16, 1
	s_or_b64 s[72:73], s[72:73], exec
	s_or_b64 s[70:71], s[70:71], exec
	s_waitcnt vmcnt(0)
	v_cmp_neq_f64_e32 vcc, s[40:41], v[0:1]
	v_cmp_neq_f64_e64 s[2:3], s[40:41], v[2:3]
	s_and_b64 s[2:3], vcc, s[2:3]
	s_and_saveexec_b64 s[76:77], s[2:3]
	s_xor_b64 s[76:77], exec, s[76:77]
	s_cbranch_execz .LBB5_37
; %bb.39:                               ;   in Loop: Header=BB5_38 Depth=3
	v_cmp_o_f64_e32 vcc, v[0:1], v[0:1]
	v_cmp_o_f64_e64 s[2:3], v[2:3], v[2:3]
	s_and_b64 s[82:83], vcc, s[2:3]
	s_mov_b64 s[2:3], -1
	s_mov_b64 s[78:79], -1
	s_and_saveexec_b64 s[80:81], s[82:83]
	s_cbranch_execz .LBB5_36
; %bb.40:                               ;   in Loop: Header=BB5_38 Depth=3
	s_add_i32 s33, s33, -1
	s_add_u32 s68, s68, 16
	s_addc_u32 s69, s69, 0
	s_cmp_eq_u32 s33, 0
	s_cselect_b64 s[2:3], -1, 0
	s_xor_b64 s[78:79], exec, -1
	s_orn2_b64 s[2:3], s[2:3], exec
	s_branch .LBB5_36
.LBB5_41:                               ;   in Loop: Header=BB5_34 Depth=2
	s_or_b64 exec, exec, s[66:67]
	s_branch .LBB5_43
.LBB5_42:                               ;   in Loop: Header=BB5_34 Depth=2
	s_mov_b64 s[64:65], -1
                                        ; implicit-def: $sgpr62_sgpr63
                                        ; implicit-def: $vgpr16
.LBB5_43:                               ;   in Loop: Header=BB5_34 Depth=2
	s_andn2_b64 s[2:3], s[58:59], exec
	s_and_b64 s[58:59], s[62:63], exec
	s_or_b64 s[58:59], s[2:3], s[58:59]
	s_and_saveexec_b64 s[2:3], s[64:65]
	s_cbranch_execz .LBB5_33
; %bb.44:                               ;   in Loop: Header=BB5_34 Depth=2
	s_add_i32 s9, s9, 1
	s_add_i32 s16, s16, s21
	s_cmp_eq_u32 s9, s20
	s_cselect_b64 s[60:61], -1, 0
	s_andn2_b64 s[62:63], s[62:63], exec
	s_andn2_b64 s[58:59], s[58:59], exec
	s_orn2_b64 s[60:61], s[60:61], exec
                                        ; implicit-def: $vgpr16
	s_branch .LBB5_33
.LBB5_45:                               ;   in Loop: Header=BB5_9 Depth=1
	s_or_b64 exec, exec, s[56:57]
.LBB5_46:                               ;   in Loop: Header=BB5_9 Depth=1
	s_mov_b64 s[2:3], -1
	s_and_saveexec_b64 s[56:57], s[6:7]
	s_cbranch_execz .LBB5_6
.LBB5_47:                               ;   in Loop: Header=BB5_9 Depth=1
	s_and_b64 vcc, exec, s[36:37]
	s_cbranch_vccz .LBB5_51
; %bb.48:                               ;   in Loop: Header=BB5_9 Depth=1
	s_and_b64 vcc, exec, s[38:39]
	s_cbranch_vccz .LBB5_52
; %bb.49:                               ;   in Loop: Header=BB5_9 Depth=1
	v_cmp_le_i32_e32 vcc, v4, v15
	v_mov_b32_e32 v16, 7
	s_or_b64 s[58:59], s[52:53], exec
	s_and_b64 s[6:7], vcc, exec
	s_cbranch_execz .LBB5_53
	s_branch .LBB5_54
.LBB5_50:                               ;   in Loop: Header=BB5_9 Depth=1
	s_mov_b64 s[6:7], -1
	s_mov_b64 s[2:3], -1
	s_and_saveexec_b64 s[56:57], s[6:7]
	s_cbranch_execz .LBB5_6
	s_branch .LBB5_47
.LBB5_51:                               ;   in Loop: Header=BB5_9 Depth=1
	s_mov_b64 s[6:7], -1
	s_mov_b64 s[58:59], s[52:53]
	s_branch .LBB5_54
.LBB5_52:                               ;   in Loop: Header=BB5_9 Depth=1
	s_mov_b64 s[6:7], 0
	s_mov_b64 s[58:59], s[52:53]
.LBB5_53:                               ;   in Loop: Header=BB5_9 Depth=1
	v_cmp_ge_i32_e32 vcc, v4, v15
	s_andn2_b64 s[6:7], s[6:7], exec
	s_and_b64 s[60:61], vcc, exec
	v_mov_b32_e32 v16, 7
	s_or_b64 s[58:59], s[58:59], exec
	s_or_b64 s[6:7], s[6:7], s[60:61]
.LBB5_54:                               ;   in Loop: Header=BB5_9 Depth=1
	s_and_saveexec_b64 s[60:61], s[6:7]
	s_cbranch_execz .LBB5_5
; %bb.55:                               ;   in Loop: Header=BB5_9 Depth=1
	s_or_b64 s[62:63], s[14:15], s[54:55]
	s_xor_b64 s[2:3], s[62:63], -1
	s_mov_b64 s[54:55], s[58:59]
	s_and_saveexec_b64 s[64:65], s[2:3]
	s_cbranch_execz .LBB5_57
; %bb.56:                               ;   in Loop: Header=BB5_9 Depth=1
	global_load_dword v0, v[10:11], off offset:-4
	v_mov_b32_e32 v16, 6
	s_or_b64 s[54:55], s[58:59], exec
	s_waitcnt vmcnt(0)
	v_subrev_u32_e32 v1, s12, v0
	v_cmp_lt_i32_e64 s[2:3], -1, v1
	v_cmp_gt_i32_e64 s[6:7], s18, v1
	s_and_b64 s[2:3], s[2:3], s[6:7]
	v_cmp_gt_i32_e32 vcc, v14, v0
	s_xor_b64 s[2:3], s[2:3], -1
	s_or_b64 s[2:3], vcc, s[2:3]
	s_andn2_b64 s[6:7], s[62:63], exec
	s_and_b64 s[2:3], s[2:3], exec
	s_or_b64 s[62:63], s[6:7], s[2:3]
.LBB5_57:                               ;   in Loop: Header=BB5_9 Depth=1
	s_or_b64 exec, exec, s[64:65]
	s_mov_b64 s[2:3], -1
	s_and_saveexec_b64 s[6:7], s[62:63]
	s_cbranch_execz .LBB5_4
; %bb.58:                               ;   in Loop: Header=BB5_9 Depth=1
	v_mov_b32_e32 v0, s23
	v_add_co_u32_e32 v6, vcc, s22, v6
	v_add_u32_e32 v8, 1, v8
	v_addc_co_u32_e32 v5, vcc, v5, v0, vcc
	v_cmp_ge_i32_e32 vcc, v8, v12
	s_andn2_b64 s[54:55], s[54:55], exec
	s_orn2_b64 s[2:3], vcc, exec
                                        ; implicit-def: $vgpr16
	s_branch .LBB5_4
.LBB5_59:
	s_or_b64 exec, exec, s[10:11]
	s_and_b64 s[0:1], s[42:43], exec
.LBB5_60:
	s_or_b64 exec, exec, s[26:27]
	s_orn2_b64 s[6:7], s[0:1], exec
.LBB5_61:
	s_or_b64 exec, exec, s[24:25]
	s_and_b64 exec, exec, s[6:7]
	s_cbranch_execz .LBB5_63
; %bb.62:
	s_load_dwordx2 s[0:1], s[4:5], 0x48
	v_mov_b32_e32 v0, 0
	s_waitcnt lgkmcnt(0)
	global_store_dword v0, v16, s[0:1]
.LBB5_63:
	s_endpgm
	.section	.rodata,"a",@progbits
	.p2align	6, 0x0
	.amdhsa_kernel _ZN9rocsparseL25check_matrix_gebsr_deviceILj256E21rocsparse_complex_numIdEiiEEv20rocsparse_direction_T2_S4_T1_S4_S4_PKT0_PKS5_PKS4_SC_21rocsparse_index_base_22rocsparse_matrix_type_20rocsparse_fill_mode_23rocsparse_storage_mode_P22rocsparse_data_status_
		.amdhsa_group_segment_fixed_size 0
		.amdhsa_private_segment_fixed_size 0
		.amdhsa_kernarg_size 80
		.amdhsa_user_sgpr_count 6
		.amdhsa_user_sgpr_private_segment_buffer 1
		.amdhsa_user_sgpr_dispatch_ptr 0
		.amdhsa_user_sgpr_queue_ptr 0
		.amdhsa_user_sgpr_kernarg_segment_ptr 1
		.amdhsa_user_sgpr_dispatch_id 0
		.amdhsa_user_sgpr_flat_scratch_init 0
		.amdhsa_user_sgpr_kernarg_preload_length 0
		.amdhsa_user_sgpr_kernarg_preload_offset 0
		.amdhsa_user_sgpr_private_segment_size 0
		.amdhsa_uses_dynamic_stack 0
		.amdhsa_system_sgpr_private_segment_wavefront_offset 0
		.amdhsa_system_sgpr_workgroup_id_x 1
		.amdhsa_system_sgpr_workgroup_id_y 0
		.amdhsa_system_sgpr_workgroup_id_z 0
		.amdhsa_system_sgpr_workgroup_info 0
		.amdhsa_system_vgpr_workitem_id 0
		.amdhsa_next_free_vgpr 17
		.amdhsa_next_free_sgpr 84
		.amdhsa_accum_offset 20
		.amdhsa_reserve_vcc 1
		.amdhsa_reserve_flat_scratch 0
		.amdhsa_float_round_mode_32 0
		.amdhsa_float_round_mode_16_64 0
		.amdhsa_float_denorm_mode_32 3
		.amdhsa_float_denorm_mode_16_64 3
		.amdhsa_dx10_clamp 1
		.amdhsa_ieee_mode 1
		.amdhsa_fp16_overflow 0
		.amdhsa_tg_split 0
		.amdhsa_exception_fp_ieee_invalid_op 0
		.amdhsa_exception_fp_denorm_src 0
		.amdhsa_exception_fp_ieee_div_zero 0
		.amdhsa_exception_fp_ieee_overflow 0
		.amdhsa_exception_fp_ieee_underflow 0
		.amdhsa_exception_fp_ieee_inexact 0
		.amdhsa_exception_int_div_zero 0
	.end_amdhsa_kernel
	.section	.text._ZN9rocsparseL25check_matrix_gebsr_deviceILj256E21rocsparse_complex_numIdEiiEEv20rocsparse_direction_T2_S4_T1_S4_S4_PKT0_PKS5_PKS4_SC_21rocsparse_index_base_22rocsparse_matrix_type_20rocsparse_fill_mode_23rocsparse_storage_mode_P22rocsparse_data_status_,"axG",@progbits,_ZN9rocsparseL25check_matrix_gebsr_deviceILj256E21rocsparse_complex_numIdEiiEEv20rocsparse_direction_T2_S4_T1_S4_S4_PKT0_PKS5_PKS4_SC_21rocsparse_index_base_22rocsparse_matrix_type_20rocsparse_fill_mode_23rocsparse_storage_mode_P22rocsparse_data_status_,comdat
.Lfunc_end5:
	.size	_ZN9rocsparseL25check_matrix_gebsr_deviceILj256E21rocsparse_complex_numIdEiiEEv20rocsparse_direction_T2_S4_T1_S4_S4_PKT0_PKS5_PKS4_SC_21rocsparse_index_base_22rocsparse_matrix_type_20rocsparse_fill_mode_23rocsparse_storage_mode_P22rocsparse_data_status_, .Lfunc_end5-_ZN9rocsparseL25check_matrix_gebsr_deviceILj256E21rocsparse_complex_numIdEiiEEv20rocsparse_direction_T2_S4_T1_S4_S4_PKT0_PKS5_PKS4_SC_21rocsparse_index_base_22rocsparse_matrix_type_20rocsparse_fill_mode_23rocsparse_storage_mode_P22rocsparse_data_status_
                                        ; -- End function
	.section	.AMDGPU.csdata,"",@progbits
; Kernel info:
; codeLenInByte = 1768
; NumSgprs: 88
; NumVgprs: 17
; NumAgprs: 0
; TotalNumVgprs: 17
; ScratchSize: 0
; MemoryBound: 0
; FloatMode: 240
; IeeeMode: 1
; LDSByteSize: 0 bytes/workgroup (compile time only)
; SGPRBlocks: 10
; VGPRBlocks: 2
; NumSGPRsForWavesPerEU: 88
; NumVGPRsForWavesPerEU: 17
; AccumOffset: 20
; Occupancy: 8
; WaveLimiterHint : 0
; COMPUTE_PGM_RSRC2:SCRATCH_EN: 0
; COMPUTE_PGM_RSRC2:USER_SGPR: 6
; COMPUTE_PGM_RSRC2:TRAP_HANDLER: 0
; COMPUTE_PGM_RSRC2:TGID_X_EN: 1
; COMPUTE_PGM_RSRC2:TGID_Y_EN: 0
; COMPUTE_PGM_RSRC2:TGID_Z_EN: 0
; COMPUTE_PGM_RSRC2:TIDIG_COMP_CNT: 0
; COMPUTE_PGM_RSRC3_GFX90A:ACCUM_OFFSET: 4
; COMPUTE_PGM_RSRC3_GFX90A:TG_SPLIT: 0
	.section	.text._ZN9rocsparseL19check_row_ptr_arrayILj256EliEEvT1_PKT0_P22rocsparse_data_status_,"axG",@progbits,_ZN9rocsparseL19check_row_ptr_arrayILj256EliEEvT1_PKT0_P22rocsparse_data_status_,comdat
	.globl	_ZN9rocsparseL19check_row_ptr_arrayILj256EliEEvT1_PKT0_P22rocsparse_data_status_ ; -- Begin function _ZN9rocsparseL19check_row_ptr_arrayILj256EliEEvT1_PKT0_P22rocsparse_data_status_
	.p2align	8
	.type	_ZN9rocsparseL19check_row_ptr_arrayILj256EliEEvT1_PKT0_P22rocsparse_data_status_,@function
_ZN9rocsparseL19check_row_ptr_arrayILj256EliEEvT1_PKT0_P22rocsparse_data_status_: ; @_ZN9rocsparseL19check_row_ptr_arrayILj256EliEEvT1_PKT0_P22rocsparse_data_status_
; %bb.0:
	s_load_dword s0, s[4:5], 0x0
	v_lshl_or_b32 v0, s6, 8, v0
	v_mov_b32_e32 v1, 0
	s_waitcnt lgkmcnt(0)
	s_ashr_i32 s1, s0, 31
	v_cmp_gt_i64_e32 vcc, s[0:1], v[0:1]
	s_and_saveexec_b64 s[0:1], vcc
	s_cbranch_execz .LBB6_3
; %bb.1:
	s_load_dwordx2 s[0:1], s[4:5], 0x8
	v_lshlrev_b64 v[0:1], 3, v[0:1]
	s_waitcnt lgkmcnt(0)
	v_mov_b32_e32 v2, s1
	v_add_co_u32_e32 v0, vcc, s0, v0
	v_addc_co_u32_e32 v1, vcc, v2, v1, vcc
	global_load_dwordx4 v[0:3], v[0:1], off
	s_load_dwordx2 s[0:1], s[0:1], 0x0
	s_waitcnt vmcnt(0) lgkmcnt(0)
	v_cmp_gt_i64_e32 vcc, s[0:1], v[0:1]
	v_cmp_gt_i64_e64 s[0:1], s[0:1], v[2:3]
	v_cmp_lt_i64_e64 s[2:3], v[2:3], v[0:1]
	s_or_b64 s[0:1], s[0:1], s[2:3]
	s_or_b64 s[0:1], vcc, s[0:1]
	s_and_b64 exec, exec, s[0:1]
	s_cbranch_execz .LBB6_3
; %bb.2:
	s_load_dwordx2 s[0:1], s[4:5], 0x10
	v_mov_b32_e32 v0, 0
	v_mov_b32_e32 v1, 3
	s_waitcnt lgkmcnt(0)
	global_store_dword v0, v1, s[0:1]
.LBB6_3:
	s_endpgm
	.section	.rodata,"a",@progbits
	.p2align	6, 0x0
	.amdhsa_kernel _ZN9rocsparseL19check_row_ptr_arrayILj256EliEEvT1_PKT0_P22rocsparse_data_status_
		.amdhsa_group_segment_fixed_size 0
		.amdhsa_private_segment_fixed_size 0
		.amdhsa_kernarg_size 24
		.amdhsa_user_sgpr_count 6
		.amdhsa_user_sgpr_private_segment_buffer 1
		.amdhsa_user_sgpr_dispatch_ptr 0
		.amdhsa_user_sgpr_queue_ptr 0
		.amdhsa_user_sgpr_kernarg_segment_ptr 1
		.amdhsa_user_sgpr_dispatch_id 0
		.amdhsa_user_sgpr_flat_scratch_init 0
		.amdhsa_user_sgpr_kernarg_preload_length 0
		.amdhsa_user_sgpr_kernarg_preload_offset 0
		.amdhsa_user_sgpr_private_segment_size 0
		.amdhsa_uses_dynamic_stack 0
		.amdhsa_system_sgpr_private_segment_wavefront_offset 0
		.amdhsa_system_sgpr_workgroup_id_x 1
		.amdhsa_system_sgpr_workgroup_id_y 0
		.amdhsa_system_sgpr_workgroup_id_z 0
		.amdhsa_system_sgpr_workgroup_info 0
		.amdhsa_system_vgpr_workitem_id 0
		.amdhsa_next_free_vgpr 4
		.amdhsa_next_free_sgpr 7
		.amdhsa_accum_offset 4
		.amdhsa_reserve_vcc 1
		.amdhsa_reserve_flat_scratch 0
		.amdhsa_float_round_mode_32 0
		.amdhsa_float_round_mode_16_64 0
		.amdhsa_float_denorm_mode_32 3
		.amdhsa_float_denorm_mode_16_64 3
		.amdhsa_dx10_clamp 1
		.amdhsa_ieee_mode 1
		.amdhsa_fp16_overflow 0
		.amdhsa_tg_split 0
		.amdhsa_exception_fp_ieee_invalid_op 0
		.amdhsa_exception_fp_denorm_src 0
		.amdhsa_exception_fp_ieee_div_zero 0
		.amdhsa_exception_fp_ieee_overflow 0
		.amdhsa_exception_fp_ieee_underflow 0
		.amdhsa_exception_fp_ieee_inexact 0
		.amdhsa_exception_int_div_zero 0
	.end_amdhsa_kernel
	.section	.text._ZN9rocsparseL19check_row_ptr_arrayILj256EliEEvT1_PKT0_P22rocsparse_data_status_,"axG",@progbits,_ZN9rocsparseL19check_row_ptr_arrayILj256EliEEvT1_PKT0_P22rocsparse_data_status_,comdat
.Lfunc_end6:
	.size	_ZN9rocsparseL19check_row_ptr_arrayILj256EliEEvT1_PKT0_P22rocsparse_data_status_, .Lfunc_end6-_ZN9rocsparseL19check_row_ptr_arrayILj256EliEEvT1_PKT0_P22rocsparse_data_status_
                                        ; -- End function
	.section	.AMDGPU.csdata,"",@progbits
; Kernel info:
; codeLenInByte = 160
; NumSgprs: 11
; NumVgprs: 4
; NumAgprs: 0
; TotalNumVgprs: 4
; ScratchSize: 0
; MemoryBound: 0
; FloatMode: 240
; IeeeMode: 1
; LDSByteSize: 0 bytes/workgroup (compile time only)
; SGPRBlocks: 1
; VGPRBlocks: 0
; NumSGPRsForWavesPerEU: 11
; NumVGPRsForWavesPerEU: 4
; AccumOffset: 4
; Occupancy: 8
; WaveLimiterHint : 0
; COMPUTE_PGM_RSRC2:SCRATCH_EN: 0
; COMPUTE_PGM_RSRC2:USER_SGPR: 6
; COMPUTE_PGM_RSRC2:TRAP_HANDLER: 0
; COMPUTE_PGM_RSRC2:TGID_X_EN: 1
; COMPUTE_PGM_RSRC2:TGID_Y_EN: 0
; COMPUTE_PGM_RSRC2:TGID_Z_EN: 0
; COMPUTE_PGM_RSRC2:TIDIG_COMP_CNT: 0
; COMPUTE_PGM_RSRC3_GFX90A:ACCUM_OFFSET: 0
; COMPUTE_PGM_RSRC3_GFX90A:TG_SPLIT: 0
	.section	.text._ZN9rocsparseL20shift_offsets_kernelILj512EliEEvT1_PKT0_PS2_,"axG",@progbits,_ZN9rocsparseL20shift_offsets_kernelILj512EliEEvT1_PKT0_PS2_,comdat
	.globl	_ZN9rocsparseL20shift_offsets_kernelILj512EliEEvT1_PKT0_PS2_ ; -- Begin function _ZN9rocsparseL20shift_offsets_kernelILj512EliEEvT1_PKT0_PS2_
	.p2align	8
	.type	_ZN9rocsparseL20shift_offsets_kernelILj512EliEEvT1_PKT0_PS2_,@function
_ZN9rocsparseL20shift_offsets_kernelILj512EliEEvT1_PKT0_PS2_: ; @_ZN9rocsparseL20shift_offsets_kernelILj512EliEEvT1_PKT0_PS2_
; %bb.0:
	s_load_dword s0, s[4:5], 0x0
	v_lshl_or_b32 v0, s6, 9, v0
	s_waitcnt lgkmcnt(0)
	v_cmp_gt_i32_e32 vcc, s0, v0
	s_and_saveexec_b64 s[0:1], vcc
	s_cbranch_execz .LBB7_2
; %bb.1:
	s_load_dwordx4 s[0:3], s[4:5], 0x8
	v_ashrrev_i32_e32 v1, 31, v0
	v_lshlrev_b64 v[0:1], 3, v[0:1]
	s_waitcnt lgkmcnt(0)
	v_mov_b32_e32 v3, s1
	v_add_co_u32_e32 v2, vcc, s0, v0
	v_addc_co_u32_e32 v3, vcc, v3, v1, vcc
	global_load_dwordx2 v[2:3], v[2:3], off
	s_load_dwordx2 s[0:1], s[0:1], 0x0
	v_mov_b32_e32 v4, s3
	v_add_co_u32_e32 v0, vcc, s2, v0
	v_addc_co_u32_e32 v1, vcc, v4, v1, vcc
	s_waitcnt lgkmcnt(0)
	v_mov_b32_e32 v4, s1
	s_waitcnt vmcnt(0)
	v_subrev_co_u32_e32 v2, vcc, s0, v2
	v_subb_co_u32_e32 v3, vcc, v3, v4, vcc
	global_store_dwordx2 v[0:1], v[2:3], off
.LBB7_2:
	s_endpgm
	.section	.rodata,"a",@progbits
	.p2align	6, 0x0
	.amdhsa_kernel _ZN9rocsparseL20shift_offsets_kernelILj512EliEEvT1_PKT0_PS2_
		.amdhsa_group_segment_fixed_size 0
		.amdhsa_private_segment_fixed_size 0
		.amdhsa_kernarg_size 24
		.amdhsa_user_sgpr_count 6
		.amdhsa_user_sgpr_private_segment_buffer 1
		.amdhsa_user_sgpr_dispatch_ptr 0
		.amdhsa_user_sgpr_queue_ptr 0
		.amdhsa_user_sgpr_kernarg_segment_ptr 1
		.amdhsa_user_sgpr_dispatch_id 0
		.amdhsa_user_sgpr_flat_scratch_init 0
		.amdhsa_user_sgpr_kernarg_preload_length 0
		.amdhsa_user_sgpr_kernarg_preload_offset 0
		.amdhsa_user_sgpr_private_segment_size 0
		.amdhsa_uses_dynamic_stack 0
		.amdhsa_system_sgpr_private_segment_wavefront_offset 0
		.amdhsa_system_sgpr_workgroup_id_x 1
		.amdhsa_system_sgpr_workgroup_id_y 0
		.amdhsa_system_sgpr_workgroup_id_z 0
		.amdhsa_system_sgpr_workgroup_info 0
		.amdhsa_system_vgpr_workitem_id 0
		.amdhsa_next_free_vgpr 5
		.amdhsa_next_free_sgpr 7
		.amdhsa_accum_offset 8
		.amdhsa_reserve_vcc 1
		.amdhsa_reserve_flat_scratch 0
		.amdhsa_float_round_mode_32 0
		.amdhsa_float_round_mode_16_64 0
		.amdhsa_float_denorm_mode_32 3
		.amdhsa_float_denorm_mode_16_64 3
		.amdhsa_dx10_clamp 1
		.amdhsa_ieee_mode 1
		.amdhsa_fp16_overflow 0
		.amdhsa_tg_split 0
		.amdhsa_exception_fp_ieee_invalid_op 0
		.amdhsa_exception_fp_denorm_src 0
		.amdhsa_exception_fp_ieee_div_zero 0
		.amdhsa_exception_fp_ieee_overflow 0
		.amdhsa_exception_fp_ieee_underflow 0
		.amdhsa_exception_fp_ieee_inexact 0
		.amdhsa_exception_int_div_zero 0
	.end_amdhsa_kernel
	.section	.text._ZN9rocsparseL20shift_offsets_kernelILj512EliEEvT1_PKT0_PS2_,"axG",@progbits,_ZN9rocsparseL20shift_offsets_kernelILj512EliEEvT1_PKT0_PS2_,comdat
.Lfunc_end7:
	.size	_ZN9rocsparseL20shift_offsets_kernelILj512EliEEvT1_PKT0_PS2_, .Lfunc_end7-_ZN9rocsparseL20shift_offsets_kernelILj512EliEEvT1_PKT0_PS2_
                                        ; -- End function
	.section	.AMDGPU.csdata,"",@progbits
; Kernel info:
; codeLenInByte = 128
; NumSgprs: 11
; NumVgprs: 5
; NumAgprs: 0
; TotalNumVgprs: 5
; ScratchSize: 0
; MemoryBound: 0
; FloatMode: 240
; IeeeMode: 1
; LDSByteSize: 0 bytes/workgroup (compile time only)
; SGPRBlocks: 1
; VGPRBlocks: 0
; NumSGPRsForWavesPerEU: 11
; NumVGPRsForWavesPerEU: 5
; AccumOffset: 8
; Occupancy: 8
; WaveLimiterHint : 0
; COMPUTE_PGM_RSRC2:SCRATCH_EN: 0
; COMPUTE_PGM_RSRC2:USER_SGPR: 6
; COMPUTE_PGM_RSRC2:TRAP_HANDLER: 0
; COMPUTE_PGM_RSRC2:TGID_X_EN: 1
; COMPUTE_PGM_RSRC2:TGID_Y_EN: 0
; COMPUTE_PGM_RSRC2:TGID_Z_EN: 0
; COMPUTE_PGM_RSRC2:TIDIG_COMP_CNT: 0
; COMPUTE_PGM_RSRC3_GFX90A:ACCUM_OFFSET: 1
; COMPUTE_PGM_RSRC3_GFX90A:TG_SPLIT: 0
	.section	.text._ZN9rocsparseL25check_matrix_gebsr_deviceILj256EfliEEv20rocsparse_direction_T2_S2_T1_S2_S2_PKT0_PKS3_PKS2_SA_21rocsparse_index_base_22rocsparse_matrix_type_20rocsparse_fill_mode_23rocsparse_storage_mode_P22rocsparse_data_status_,"axG",@progbits,_ZN9rocsparseL25check_matrix_gebsr_deviceILj256EfliEEv20rocsparse_direction_T2_S2_T1_S2_S2_PKT0_PKS3_PKS2_SA_21rocsparse_index_base_22rocsparse_matrix_type_20rocsparse_fill_mode_23rocsparse_storage_mode_P22rocsparse_data_status_,comdat
	.globl	_ZN9rocsparseL25check_matrix_gebsr_deviceILj256EfliEEv20rocsparse_direction_T2_S2_T1_S2_S2_PKT0_PKS3_PKS2_SA_21rocsparse_index_base_22rocsparse_matrix_type_20rocsparse_fill_mode_23rocsparse_storage_mode_P22rocsparse_data_status_ ; -- Begin function _ZN9rocsparseL25check_matrix_gebsr_deviceILj256EfliEEv20rocsparse_direction_T2_S2_T1_S2_S2_PKT0_PKS3_PKS2_SA_21rocsparse_index_base_22rocsparse_matrix_type_20rocsparse_fill_mode_23rocsparse_storage_mode_P22rocsparse_data_status_
	.p2align	8
	.type	_ZN9rocsparseL25check_matrix_gebsr_deviceILj256EfliEEv20rocsparse_direction_T2_S2_T1_S2_S2_PKT0_PKS3_PKS2_SA_21rocsparse_index_base_22rocsparse_matrix_type_20rocsparse_fill_mode_23rocsparse_storage_mode_P22rocsparse_data_status_,@function
_ZN9rocsparseL25check_matrix_gebsr_deviceILj256EfliEEv20rocsparse_direction_T2_S2_T1_S2_S2_PKT0_PKS3_PKS2_SA_21rocsparse_index_base_22rocsparse_matrix_type_20rocsparse_fill_mode_23rocsparse_storage_mode_P22rocsparse_data_status_: ; @_ZN9rocsparseL25check_matrix_gebsr_deviceILj256EfliEEv20rocsparse_direction_T2_S2_T1_S2_S2_PKT0_PKS3_PKS2_SA_21rocsparse_index_base_22rocsparse_matrix_type_20rocsparse_fill_mode_23rocsparse_storage_mode_P22rocsparse_data_status_
; %bb.0:
	s_load_dwordx4 s[16:19], s[4:5], 0x0
	v_mov_b32_e32 v5, 0
	v_lshl_or_b32 v4, s6, 8, v0
	s_waitcnt lgkmcnt(0)
	s_ashr_i32 s1, s17, 31
	s_mov_b32 s0, s17
	v_cmp_gt_i64_e32 vcc, s[0:1], v[4:5]
	s_and_saveexec_b64 s[0:1], vcc
	s_cbranch_execz .LBB8_63
; %bb.1:
	s_load_dwordx2 s[0:1], s[4:5], 0x28
	v_lshlrev_b64 v[0:1], 3, v[4:5]
	s_mov_b64 s[8:9], -1
	s_mov_b64 s[6:7], 0
	v_mov_b32_e32 v16, 3
	s_waitcnt lgkmcnt(0)
	v_mov_b32_e32 v2, s1
	v_add_co_u32_e32 v0, vcc, s0, v0
	v_addc_co_u32_e32 v1, vcc, v2, v1, vcc
	global_load_dwordx4 v[0:3], v[0:1], off
	s_load_dwordx2 s[0:1], s[0:1], 0x0
	s_waitcnt lgkmcnt(0)
	v_mov_b32_e32 v5, s1
	s_waitcnt vmcnt(0)
	v_subrev_co_u32_e32 v6, vcc, s0, v0
	v_subb_co_u32_e32 v7, vcc, v1, v5, vcc
	v_subrev_co_u32_e32 v8, vcc, s0, v2
	v_subb_co_u32_e32 v9, vcc, v3, v5, vcc
	v_cmp_lt_i64_e32 vcc, v[2:3], v[0:1]
	v_cmp_gt_i64_e64 s[2:3], 0, v[8:9]
	s_or_b64 s[2:3], s[2:3], vcc
	v_cmp_lt_i64_e64 s[0:1], -1, v[6:7]
	s_xor_b64 s[2:3], s[2:3], -1
	s_and_b64 s[0:1], s[0:1], s[2:3]
	s_and_saveexec_b64 s[24:25], s[0:1]
	s_cbranch_execz .LBB8_61
; %bb.2:
	v_cmp_lt_i64_e32 vcc, v[0:1], v[2:3]
	v_mov_b32_e32 v16, 3
	s_and_saveexec_b64 s[26:27], vcc
	s_cbranch_execz .LBB8_60
; %bb.3:
	s_load_dwordx4 s[20:23], s[4:5], 0x18
	s_load_dwordx8 s[8:15], s[4:5], 0x30
	s_cmp_lg_u32 s16, 0
	s_cselect_b64 s[28:29], -1, 0
	s_mov_b32 s17, 0
	s_waitcnt lgkmcnt(0)
	s_cmp_gt_i32 s21, 0
	s_mul_hi_i32 s1, s21, s20
	s_mul_i32 s0, s21, s20
	s_cselect_b64 s[30:31], -1, 0
	s_cmp_gt_i32 s20, 0
	v_mul_lo_u32 v2, s1, v6
	v_mul_lo_u32 v3, s0, v7
	v_mad_u64_u32 v[0:1], s[2:3], s0, v6, 0
	s_cselect_b64 s[34:35], -1, 0
	s_cmp_lg_u32 s13, 0
	v_add3_u32 v1, v1, v3, v2
	s_cselect_b64 s[36:37], -1, 0
	s_cmp_lg_u32 s14, 0
	v_lshlrev_b64 v[0:1], 2, v[0:1]
	s_cselect_b64 s[38:39], -1, 0
	s_cmp_lg_u32 s15, 0
	v_mov_b32_e32 v2, s23
	v_add_co_u32_e32 v0, vcc, s22, v0
	s_cselect_b64 s[14:15], -1, 0
	s_add_u32 s13, s10, -4
	v_addc_co_u32_e32 v1, vcc, v2, v1, vcc
	v_cndmask_b32_e64 v2, 0, 1, s[34:35]
	s_addc_u32 s19, s11, -1
	s_lshl_b64 s[22:23], s[0:1], 2
	s_mov_b64 s[10:11], 0
	v_mov_b32_e32 v5, s9
	s_mov_b32 s9, 0x7f800000
	v_cmp_ne_u32_e64 s[0:1], 1, v2
	v_pk_mov_b32 v[2:3], v[6:7], v[6:7] op_sel:[0,1]
                                        ; implicit-def: $sgpr40_sgpr41
                                        ; implicit-def: $sgpr42_sgpr43
                                        ; implicit-def: $sgpr44_sgpr45
	s_branch .LBB8_9
.LBB8_4:                                ;   in Loop: Header=BB8_9 Depth=1
	s_or_b64 exec, exec, s[6:7]
	s_andn2_b64 s[6:7], s[56:57], exec
	s_and_b64 s[52:53], s[52:53], exec
	s_or_b64 s[56:57], s[6:7], s[52:53]
	s_orn2_b64 s[2:3], s[2:3], exec
.LBB8_5:                                ;   in Loop: Header=BB8_9 Depth=1
	s_or_b64 exec, exec, s[58:59]
	s_andn2_b64 s[6:7], s[50:51], exec
	s_and_b64 s[50:51], s[56:57], exec
	s_or_b64 s[50:51], s[6:7], s[50:51]
	s_orn2_b64 s[6:7], s[2:3], exec
.LBB8_6:                                ;   in Loop: Header=BB8_9 Depth=1
	s_or_b64 exec, exec, s[54:55]
	s_orn2_b64 s[50:51], s[50:51], exec
	s_orn2_b64 s[2:3], s[6:7], exec
.LBB8_7:                                ;   in Loop: Header=BB8_9 Depth=1
	s_or_b64 exec, exec, s[48:49]
	s_andn2_b64 s[6:7], s[44:45], exec
	s_and_b64 s[44:45], s[50:51], exec
	s_or_b64 s[44:45], s[6:7], s[44:45]
	s_andn2_b64 s[6:7], s[42:43], exec
	s_and_b64 s[2:3], s[2:3], exec
	s_or_b64 s[42:43], s[6:7], s[2:3]
.LBB8_8:                                ;   in Loop: Header=BB8_9 Depth=1
	s_or_b64 exec, exec, s[46:47]
	s_and_b64 s[2:3], exec, s[42:43]
	s_or_b64 s[10:11], s[2:3], s[10:11]
	s_andn2_b64 s[2:3], s[40:41], exec
	s_and_b64 s[6:7], s[44:45], exec
	s_or_b64 s[40:41], s[2:3], s[6:7]
	s_andn2_b64 exec, exec, s[10:11]
	s_cbranch_execz .LBB8_59
.LBB8_9:                                ; =>This Loop Header: Depth=1
                                        ;     Child Loop BB8_34 Depth 2
                                        ;       Child Loop BB8_38 Depth 3
                                        ;     Child Loop BB8_17 Depth 2
                                        ;       Child Loop BB8_21 Depth 3
	v_lshlrev_b64 v[12:13], 2, v[2:3]
	v_add_co_u32_e32 v10, vcc, s8, v12
	v_addc_co_u32_e32 v11, vcc, v5, v13, vcc
	global_load_dword v14, v[10:11], off
	v_mov_b32_e32 v16, 4
	s_or_b64 s[44:45], s[44:45], exec
	s_or_b64 s[42:43], s[42:43], exec
	s_waitcnt vmcnt(0)
	v_subrev_u32_e32 v15, s12, v14
	v_cmp_lt_i32_e32 vcc, -1, v15
	v_cmp_gt_i32_e64 s[2:3], s18, v15
	s_and_b64 s[2:3], vcc, s[2:3]
	s_and_saveexec_b64 s[46:47], s[2:3]
	s_cbranch_execz .LBB8_8
; %bb.10:                               ;   in Loop: Header=BB8_9 Depth=1
	v_cmp_le_i64_e64 s[52:53], v[2:3], v[6:7]
	v_cmp_gt_i64_e32 vcc, v[2:3], v[6:7]
	v_mov_b32_e32 v16, 4
	s_mov_b64 s[6:7], s[52:53]
	s_and_saveexec_b64 s[48:49], vcc
	s_cbranch_execz .LBB8_12
; %bb.11:                               ;   in Loop: Header=BB8_9 Depth=1
	v_mov_b32_e32 v16, s19
	v_add_co_u32_e32 v12, vcc, s13, v12
	v_addc_co_u32_e32 v13, vcc, v16, v13, vcc
	global_load_dwordx2 v[12:13], v[12:13], off
	v_mov_b32_e32 v16, 5
	s_waitcnt vmcnt(0)
	v_subrev_u32_e32 v17, s12, v12
	v_cmp_lt_i32_e64 s[2:3], -1, v17
	v_cmp_gt_i32_e64 s[6:7], s18, v17
	s_and_b64 s[2:3], s[2:3], s[6:7]
	v_cmp_ne_u32_e32 vcc, v13, v12
	s_xor_b64 s[2:3], s[2:3], -1
	s_or_b64 s[2:3], vcc, s[2:3]
	s_andn2_b64 s[6:7], s[52:53], exec
	s_and_b64 s[2:3], s[2:3], exec
	s_or_b64 s[6:7], s[6:7], s[2:3]
.LBB8_12:                               ;   in Loop: Header=BB8_9 Depth=1
	s_or_b64 exec, exec, s[48:49]
	s_mov_b64 s[2:3], -1
	s_mov_b64 s[50:51], -1
	s_and_saveexec_b64 s[48:49], s[6:7]
	s_cbranch_execz .LBB8_7
; %bb.13:                               ;   in Loop: Header=BB8_9 Depth=1
	s_and_b64 vcc, exec, s[28:29]
	s_cbranch_vccz .LBB8_30
; %bb.14:                               ;   in Loop: Header=BB8_9 Depth=1
	s_and_b64 vcc, exec, s[30:31]
	s_cbranch_vccz .LBB8_29
; %bb.15:                               ;   in Loop: Header=BB8_9 Depth=1
	s_mov_b32 s16, 0
	s_mov_b64 s[6:7], 0
	s_mov_b32 s33, s16
                                        ; implicit-def: $sgpr2_sgpr3
                                        ; implicit-def: $sgpr50_sgpr51
                                        ; implicit-def: $sgpr54_sgpr55
	s_branch .LBB8_17
.LBB8_16:                               ;   in Loop: Header=BB8_17 Depth=2
	s_or_b64 exec, exec, s[62:63]
	s_xor_b64 s[58:59], s[58:59], -1
	s_and_b64 s[56:57], exec, s[56:57]
	s_or_b64 s[6:7], s[56:57], s[6:7]
	s_andn2_b64 s[50:51], s[50:51], exec
	s_and_b64 s[56:57], s[54:55], exec
	s_or_b64 s[50:51], s[50:51], s[56:57]
	s_andn2_b64 s[2:3], s[2:3], exec
	s_and_b64 s[56:57], s[58:59], exec
	s_or_b64 s[2:3], s[2:3], s[56:57]
	s_andn2_b64 exec, exec, s[6:7]
	s_cbranch_execz .LBB8_28
.LBB8_17:                               ;   Parent Loop BB8_9 Depth=1
                                        ; =>  This Loop Header: Depth=2
                                        ;       Child Loop BB8_21 Depth 3
	s_and_b64 vcc, exec, s[0:1]
	s_mov_b64 s[56:57], -1
	s_cbranch_vccnz .LBB8_25
; %bb.18:                               ;   in Loop: Header=BB8_17 Depth=2
	s_lshl_b64 s[58:59], s[16:17], 2
	v_mov_b32_e32 v13, s59
	v_add_co_u32_e32 v12, vcc, s58, v0
	v_addc_co_u32_e32 v13, vcc, v1, v13, vcc
	s_mov_b64 s[62:63], 0
	s_mov_b32 s78, s20
                                        ; implicit-def: $sgpr60_sgpr61
                                        ; implicit-def: $sgpr58_sgpr59
                                        ; implicit-def: $sgpr64_sgpr65
                                        ; implicit-def: $sgpr66_sgpr67
	s_branch .LBB8_21
.LBB8_19:                               ;   in Loop: Header=BB8_21 Depth=3
	s_or_b64 exec, exec, s[76:77]
	s_andn2_b64 s[66:67], s[66:67], exec
	s_and_b64 s[74:75], s[74:75], exec
	s_andn2_b64 s[64:65], s[64:65], exec
	s_and_b64 s[72:73], s[72:73], exec
	v_mov_b32_e32 v16, 2
	s_or_b64 s[66:67], s[66:67], s[74:75]
	s_or_b64 s[64:65], s[64:65], s[72:73]
.LBB8_20:                               ;   in Loop: Header=BB8_21 Depth=3
	s_or_b64 exec, exec, s[70:71]
	s_xor_b64 s[70:71], s[66:67], -1
	s_and_b64 s[72:73], exec, s[64:65]
	s_or_b64 s[62:63], s[72:73], s[62:63]
	s_andn2_b64 s[58:59], s[58:59], exec
	s_and_b64 s[68:69], s[68:69], exec
	s_or_b64 s[58:59], s[58:59], s[68:69]
	s_andn2_b64 s[60:61], s[60:61], exec
	s_and_b64 s[68:69], s[70:71], exec
	s_or_b64 s[60:61], s[60:61], s[68:69]
	s_andn2_b64 exec, exec, s[62:63]
	s_cbranch_execz .LBB8_24
.LBB8_21:                               ;   Parent Loop BB8_9 Depth=1
                                        ;     Parent Loop BB8_17 Depth=2
                                        ; =>    This Inner Loop Header: Depth=3
	global_load_dword v17, v[12:13], off
	s_mov_b64 s[68:69], -1
	v_mov_b32_e32 v16, 1
	s_or_b64 s[66:67], s[66:67], exec
	s_or_b64 s[64:65], s[64:65], exec
	s_waitcnt vmcnt(0)
	v_cmp_neq_f32_e32 vcc, s9, v17
	s_and_saveexec_b64 s[70:71], vcc
	s_xor_b64 s[70:71], exec, s[70:71]
	s_cbranch_execz .LBB8_20
; %bb.22:                               ;   in Loop: Header=BB8_21 Depth=3
	v_cmp_o_f32_e32 vcc, v17, v17
	s_mov_b64 s[72:73], -1
	s_mov_b64 s[74:75], -1
	s_and_saveexec_b64 s[76:77], vcc
	s_cbranch_execz .LBB8_19
; %bb.23:                               ;   in Loop: Header=BB8_21 Depth=3
	s_add_i32 s78, s78, -1
	s_cmp_eq_u32 s78, 0
	v_add_co_u32_e32 v12, vcc, 4, v12
	s_cselect_b64 s[72:73], -1, 0
	v_addc_co_u32_e32 v13, vcc, 0, v13, vcc
	s_xor_b64 s[74:75], exec, -1
	s_orn2_b64 s[72:73], s[72:73], exec
	s_branch .LBB8_19
.LBB8_24:                               ;   in Loop: Header=BB8_17 Depth=2
	s_or_b64 exec, exec, s[62:63]
	s_branch .LBB8_26
.LBB8_25:                               ;   in Loop: Header=BB8_17 Depth=2
	s_mov_b64 s[60:61], -1
                                        ; implicit-def: $sgpr58_sgpr59
                                        ; implicit-def: $vgpr16
.LBB8_26:                               ;   in Loop: Header=BB8_17 Depth=2
	s_andn2_b64 s[54:55], s[54:55], exec
	s_and_b64 s[62:63], s[58:59], exec
	s_or_b64 s[54:55], s[54:55], s[62:63]
	s_and_saveexec_b64 s[62:63], s[60:61]
	s_cbranch_execz .LBB8_16
; %bb.27:                               ;   in Loop: Header=BB8_17 Depth=2
	s_add_i32 s33, s33, 1
	s_add_i32 s16, s16, s20
	s_cmp_eq_u32 s33, s21
	s_cselect_b64 s[56:57], -1, 0
	s_andn2_b64 s[58:59], s[58:59], exec
	s_andn2_b64 s[54:55], s[54:55], exec
	s_orn2_b64 s[56:57], s[56:57], exec
                                        ; implicit-def: $vgpr16
	s_branch .LBB8_16
.LBB8_28:                               ;   in Loop: Header=BB8_9 Depth=1
	s_or_b64 exec, exec, s[6:7]
.LBB8_29:                               ;   in Loop: Header=BB8_9 Depth=1
	s_branch .LBB8_46
.LBB8_30:                               ;   in Loop: Header=BB8_9 Depth=1
	s_mov_b64 s[2:3], 0
	s_cbranch_execz .LBB8_46
; %bb.31:                               ;   in Loop: Header=BB8_9 Depth=1
	s_and_b64 vcc, exec, s[34:35]
	s_cbranch_vccz .LBB8_50
; %bb.32:                               ;   in Loop: Header=BB8_9 Depth=1
	s_mov_b32 s16, 0
	s_mov_b64 s[6:7], 0
	s_mov_b32 s33, s16
                                        ; implicit-def: $sgpr2_sgpr3
                                        ; implicit-def: $sgpr50_sgpr51
                                        ; implicit-def: $sgpr54_sgpr55
	s_branch .LBB8_34
.LBB8_33:                               ;   in Loop: Header=BB8_34 Depth=2
	s_or_b64 exec, exec, s[62:63]
	s_xor_b64 s[58:59], s[58:59], -1
	s_and_b64 s[56:57], exec, s[56:57]
	s_or_b64 s[6:7], s[56:57], s[6:7]
	s_andn2_b64 s[50:51], s[50:51], exec
	s_and_b64 s[56:57], s[54:55], exec
	s_or_b64 s[50:51], s[50:51], s[56:57]
	s_andn2_b64 s[2:3], s[2:3], exec
	s_and_b64 s[56:57], s[58:59], exec
	s_or_b64 s[2:3], s[2:3], s[56:57]
	s_andn2_b64 exec, exec, s[6:7]
	s_cbranch_execz .LBB8_45
.LBB8_34:                               ;   Parent Loop BB8_9 Depth=1
                                        ; =>  This Loop Header: Depth=2
                                        ;       Child Loop BB8_38 Depth 3
	s_andn2_b64 vcc, exec, s[30:31]
	s_mov_b64 s[56:57], -1
	s_cbranch_vccnz .LBB8_42
; %bb.35:                               ;   in Loop: Header=BB8_34 Depth=2
	s_lshl_b64 s[58:59], s[16:17], 2
	v_mov_b32_e32 v13, s59
	v_add_co_u32_e32 v12, vcc, s58, v0
	v_addc_co_u32_e32 v13, vcc, v1, v13, vcc
	s_mov_b64 s[62:63], 0
	s_mov_b32 s78, s21
                                        ; implicit-def: $sgpr60_sgpr61
                                        ; implicit-def: $sgpr58_sgpr59
                                        ; implicit-def: $sgpr64_sgpr65
                                        ; implicit-def: $sgpr66_sgpr67
	s_branch .LBB8_38
.LBB8_36:                               ;   in Loop: Header=BB8_38 Depth=3
	s_or_b64 exec, exec, s[76:77]
	s_andn2_b64 s[66:67], s[66:67], exec
	s_and_b64 s[74:75], s[74:75], exec
	s_andn2_b64 s[64:65], s[64:65], exec
	s_and_b64 s[72:73], s[72:73], exec
	v_mov_b32_e32 v16, 2
	s_or_b64 s[66:67], s[66:67], s[74:75]
	s_or_b64 s[64:65], s[64:65], s[72:73]
.LBB8_37:                               ;   in Loop: Header=BB8_38 Depth=3
	s_or_b64 exec, exec, s[70:71]
	s_xor_b64 s[70:71], s[66:67], -1
	s_and_b64 s[72:73], exec, s[64:65]
	s_or_b64 s[62:63], s[72:73], s[62:63]
	s_andn2_b64 s[58:59], s[58:59], exec
	s_and_b64 s[68:69], s[68:69], exec
	s_or_b64 s[58:59], s[58:59], s[68:69]
	s_andn2_b64 s[60:61], s[60:61], exec
	s_and_b64 s[68:69], s[70:71], exec
	s_or_b64 s[60:61], s[60:61], s[68:69]
	s_andn2_b64 exec, exec, s[62:63]
	s_cbranch_execz .LBB8_41
.LBB8_38:                               ;   Parent Loop BB8_9 Depth=1
                                        ;     Parent Loop BB8_34 Depth=2
                                        ; =>    This Inner Loop Header: Depth=3
	global_load_dword v17, v[12:13], off
	s_mov_b64 s[68:69], -1
	v_mov_b32_e32 v16, 1
	s_or_b64 s[66:67], s[66:67], exec
	s_or_b64 s[64:65], s[64:65], exec
	s_waitcnt vmcnt(0)
	v_cmp_neq_f32_e32 vcc, s9, v17
	s_and_saveexec_b64 s[70:71], vcc
	s_xor_b64 s[70:71], exec, s[70:71]
	s_cbranch_execz .LBB8_37
; %bb.39:                               ;   in Loop: Header=BB8_38 Depth=3
	v_cmp_o_f32_e32 vcc, v17, v17
	s_mov_b64 s[72:73], -1
	s_mov_b64 s[74:75], -1
	s_and_saveexec_b64 s[76:77], vcc
	s_cbranch_execz .LBB8_36
; %bb.40:                               ;   in Loop: Header=BB8_38 Depth=3
	s_add_i32 s78, s78, -1
	s_cmp_eq_u32 s78, 0
	v_add_co_u32_e32 v12, vcc, 4, v12
	s_cselect_b64 s[72:73], -1, 0
	v_addc_co_u32_e32 v13, vcc, 0, v13, vcc
	s_xor_b64 s[74:75], exec, -1
	s_orn2_b64 s[72:73], s[72:73], exec
	s_branch .LBB8_36
.LBB8_41:                               ;   in Loop: Header=BB8_34 Depth=2
	s_or_b64 exec, exec, s[62:63]
	s_branch .LBB8_43
.LBB8_42:                               ;   in Loop: Header=BB8_34 Depth=2
	s_mov_b64 s[60:61], -1
                                        ; implicit-def: $sgpr58_sgpr59
                                        ; implicit-def: $vgpr16
.LBB8_43:                               ;   in Loop: Header=BB8_34 Depth=2
	s_andn2_b64 s[54:55], s[54:55], exec
	s_and_b64 s[62:63], s[58:59], exec
	s_or_b64 s[54:55], s[54:55], s[62:63]
	s_and_saveexec_b64 s[62:63], s[60:61]
	s_cbranch_execz .LBB8_33
; %bb.44:                               ;   in Loop: Header=BB8_34 Depth=2
	s_add_i32 s33, s33, 1
	s_add_i32 s16, s16, s21
	s_cmp_eq_u32 s33, s20
	s_cselect_b64 s[56:57], -1, 0
	s_andn2_b64 s[58:59], s[58:59], exec
	s_andn2_b64 s[54:55], s[54:55], exec
	s_orn2_b64 s[56:57], s[56:57], exec
                                        ; implicit-def: $vgpr16
	s_branch .LBB8_33
.LBB8_45:                               ;   in Loop: Header=BB8_9 Depth=1
	s_or_b64 exec, exec, s[6:7]
.LBB8_46:                               ;   in Loop: Header=BB8_9 Depth=1
	s_mov_b64 s[6:7], -1
	s_and_saveexec_b64 s[54:55], s[2:3]
	s_cbranch_execz .LBB8_6
.LBB8_47:                               ;   in Loop: Header=BB8_9 Depth=1
	s_mov_b64 s[2:3], -1
	s_and_b64 vcc, exec, s[36:37]
	s_cbranch_vccz .LBB8_51
; %bb.48:                               ;   in Loop: Header=BB8_9 Depth=1
	s_and_b64 vcc, exec, s[38:39]
	s_cbranch_vccz .LBB8_52
; %bb.49:                               ;   in Loop: Header=BB8_9 Depth=1
	v_cmp_le_u32_e32 vcc, v4, v15
	v_mov_b32_e32 v16, 7
	s_or_b64 s[56:57], s[50:51], exec
	s_and_b64 s[6:7], vcc, exec
	s_cbranch_execz .LBB8_53
	s_branch .LBB8_54
.LBB8_50:                               ;   in Loop: Header=BB8_9 Depth=1
	s_mov_b64 s[2:3], -1
	s_mov_b64 s[6:7], -1
	s_and_saveexec_b64 s[54:55], s[2:3]
	s_cbranch_execz .LBB8_6
	s_branch .LBB8_47
.LBB8_51:                               ;   in Loop: Header=BB8_9 Depth=1
	s_mov_b64 s[56:57], s[50:51]
	s_branch .LBB8_54
.LBB8_52:                               ;   in Loop: Header=BB8_9 Depth=1
	s_mov_b64 s[6:7], 0
	s_mov_b64 s[56:57], s[50:51]
.LBB8_53:                               ;   in Loop: Header=BB8_9 Depth=1
	v_cmp_ge_u32_e32 vcc, v4, v15
	s_andn2_b64 s[6:7], s[6:7], exec
	s_and_b64 s[58:59], vcc, exec
	v_mov_b32_e32 v16, 7
	s_or_b64 s[56:57], s[56:57], exec
	s_or_b64 s[6:7], s[6:7], s[58:59]
.LBB8_54:                               ;   in Loop: Header=BB8_9 Depth=1
	s_and_saveexec_b64 s[58:59], s[6:7]
	s_cbranch_execz .LBB8_5
; %bb.55:                               ;   in Loop: Header=BB8_9 Depth=1
	s_or_b64 s[60:61], s[14:15], s[52:53]
	s_xor_b64 s[2:3], s[60:61], -1
	s_mov_b64 s[52:53], s[56:57]
	s_and_saveexec_b64 s[62:63], s[2:3]
	s_cbranch_execz .LBB8_57
; %bb.56:                               ;   in Loop: Header=BB8_9 Depth=1
	global_load_dword v10, v[10:11], off offset:-4
	v_mov_b32_e32 v16, 6
	s_or_b64 s[52:53], s[56:57], exec
	s_waitcnt vmcnt(0)
	v_subrev_u32_e32 v11, s12, v10
	v_cmp_lt_i32_e64 s[2:3], -1, v11
	v_cmp_gt_i32_e64 s[6:7], s18, v11
	s_and_b64 s[2:3], s[2:3], s[6:7]
	v_cmp_gt_i32_e32 vcc, v14, v10
	s_xor_b64 s[2:3], s[2:3], -1
	s_or_b64 s[2:3], vcc, s[2:3]
	s_andn2_b64 s[6:7], s[60:61], exec
	s_and_b64 s[2:3], s[2:3], exec
	s_or_b64 s[60:61], s[6:7], s[2:3]
.LBB8_57:                               ;   in Loop: Header=BB8_9 Depth=1
	s_or_b64 exec, exec, s[62:63]
	s_mov_b64 s[2:3], -1
	s_and_saveexec_b64 s[6:7], s[60:61]
	s_cbranch_execz .LBB8_4
; %bb.58:                               ;   in Loop: Header=BB8_9 Depth=1
	v_add_co_u32_e32 v2, vcc, 1, v2
	v_addc_co_u32_e32 v3, vcc, 0, v3, vcc
	v_mov_b32_e32 v10, s23
	v_add_co_u32_e32 v0, vcc, s22, v0
	v_addc_co_u32_e32 v1, vcc, v1, v10, vcc
	v_cmp_ge_i64_e32 vcc, v[2:3], v[8:9]
	s_andn2_b64 s[52:53], s[52:53], exec
	s_orn2_b64 s[2:3], vcc, exec
                                        ; implicit-def: $vgpr16
	s_branch .LBB8_4
.LBB8_59:
	s_or_b64 exec, exec, s[10:11]
	s_and_b64 s[6:7], s[40:41], exec
.LBB8_60:
	s_or_b64 exec, exec, s[26:27]
	s_orn2_b64 s[8:9], s[6:7], exec
.LBB8_61:
	s_or_b64 exec, exec, s[24:25]
	s_and_b64 exec, exec, s[8:9]
	s_cbranch_execz .LBB8_63
; %bb.62:
	s_load_dwordx2 s[0:1], s[4:5], 0x50
	v_mov_b32_e32 v0, 0
	s_waitcnt lgkmcnt(0)
	global_store_dword v0, v16, s[0:1]
.LBB8_63:
	s_endpgm
	.section	.rodata,"a",@progbits
	.p2align	6, 0x0
	.amdhsa_kernel _ZN9rocsparseL25check_matrix_gebsr_deviceILj256EfliEEv20rocsparse_direction_T2_S2_T1_S2_S2_PKT0_PKS3_PKS2_SA_21rocsparse_index_base_22rocsparse_matrix_type_20rocsparse_fill_mode_23rocsparse_storage_mode_P22rocsparse_data_status_
		.amdhsa_group_segment_fixed_size 0
		.amdhsa_private_segment_fixed_size 0
		.amdhsa_kernarg_size 88
		.amdhsa_user_sgpr_count 6
		.amdhsa_user_sgpr_private_segment_buffer 1
		.amdhsa_user_sgpr_dispatch_ptr 0
		.amdhsa_user_sgpr_queue_ptr 0
		.amdhsa_user_sgpr_kernarg_segment_ptr 1
		.amdhsa_user_sgpr_dispatch_id 0
		.amdhsa_user_sgpr_flat_scratch_init 0
		.amdhsa_user_sgpr_kernarg_preload_length 0
		.amdhsa_user_sgpr_kernarg_preload_offset 0
		.amdhsa_user_sgpr_private_segment_size 0
		.amdhsa_uses_dynamic_stack 0
		.amdhsa_system_sgpr_private_segment_wavefront_offset 0
		.amdhsa_system_sgpr_workgroup_id_x 1
		.amdhsa_system_sgpr_workgroup_id_y 0
		.amdhsa_system_sgpr_workgroup_id_z 0
		.amdhsa_system_sgpr_workgroup_info 0
		.amdhsa_system_vgpr_workitem_id 0
		.amdhsa_next_free_vgpr 18
		.amdhsa_next_free_sgpr 79
		.amdhsa_accum_offset 20
		.amdhsa_reserve_vcc 1
		.amdhsa_reserve_flat_scratch 0
		.amdhsa_float_round_mode_32 0
		.amdhsa_float_round_mode_16_64 0
		.amdhsa_float_denorm_mode_32 3
		.amdhsa_float_denorm_mode_16_64 3
		.amdhsa_dx10_clamp 1
		.amdhsa_ieee_mode 1
		.amdhsa_fp16_overflow 0
		.amdhsa_tg_split 0
		.amdhsa_exception_fp_ieee_invalid_op 0
		.amdhsa_exception_fp_denorm_src 0
		.amdhsa_exception_fp_ieee_div_zero 0
		.amdhsa_exception_fp_ieee_overflow 0
		.amdhsa_exception_fp_ieee_underflow 0
		.amdhsa_exception_fp_ieee_inexact 0
		.amdhsa_exception_int_div_zero 0
	.end_amdhsa_kernel
	.section	.text._ZN9rocsparseL25check_matrix_gebsr_deviceILj256EfliEEv20rocsparse_direction_T2_S2_T1_S2_S2_PKT0_PKS3_PKS2_SA_21rocsparse_index_base_22rocsparse_matrix_type_20rocsparse_fill_mode_23rocsparse_storage_mode_P22rocsparse_data_status_,"axG",@progbits,_ZN9rocsparseL25check_matrix_gebsr_deviceILj256EfliEEv20rocsparse_direction_T2_S2_T1_S2_S2_PKT0_PKS3_PKS2_SA_21rocsparse_index_base_22rocsparse_matrix_type_20rocsparse_fill_mode_23rocsparse_storage_mode_P22rocsparse_data_status_,comdat
.Lfunc_end8:
	.size	_ZN9rocsparseL25check_matrix_gebsr_deviceILj256EfliEEv20rocsparse_direction_T2_S2_T1_S2_S2_PKT0_PKS3_PKS2_SA_21rocsparse_index_base_22rocsparse_matrix_type_20rocsparse_fill_mode_23rocsparse_storage_mode_P22rocsparse_data_status_, .Lfunc_end8-_ZN9rocsparseL25check_matrix_gebsr_deviceILj256EfliEEv20rocsparse_direction_T2_S2_T1_S2_S2_PKT0_PKS3_PKS2_SA_21rocsparse_index_base_22rocsparse_matrix_type_20rocsparse_fill_mode_23rocsparse_storage_mode_P22rocsparse_data_status_
                                        ; -- End function
	.section	.AMDGPU.csdata,"",@progbits
; Kernel info:
; codeLenInByte = 1732
; NumSgprs: 83
; NumVgprs: 18
; NumAgprs: 0
; TotalNumVgprs: 18
; ScratchSize: 0
; MemoryBound: 0
; FloatMode: 240
; IeeeMode: 1
; LDSByteSize: 0 bytes/workgroup (compile time only)
; SGPRBlocks: 10
; VGPRBlocks: 2
; NumSGPRsForWavesPerEU: 83
; NumVGPRsForWavesPerEU: 18
; AccumOffset: 20
; Occupancy: 8
; WaveLimiterHint : 0
; COMPUTE_PGM_RSRC2:SCRATCH_EN: 0
; COMPUTE_PGM_RSRC2:USER_SGPR: 6
; COMPUTE_PGM_RSRC2:TRAP_HANDLER: 0
; COMPUTE_PGM_RSRC2:TGID_X_EN: 1
; COMPUTE_PGM_RSRC2:TGID_Y_EN: 0
; COMPUTE_PGM_RSRC2:TGID_Z_EN: 0
; COMPUTE_PGM_RSRC2:TIDIG_COMP_CNT: 0
; COMPUTE_PGM_RSRC3_GFX90A:ACCUM_OFFSET: 4
; COMPUTE_PGM_RSRC3_GFX90A:TG_SPLIT: 0
	.section	.text._ZN9rocsparseL25check_matrix_gebsr_deviceILj256EdliEEv20rocsparse_direction_T2_S2_T1_S2_S2_PKT0_PKS3_PKS2_SA_21rocsparse_index_base_22rocsparse_matrix_type_20rocsparse_fill_mode_23rocsparse_storage_mode_P22rocsparse_data_status_,"axG",@progbits,_ZN9rocsparseL25check_matrix_gebsr_deviceILj256EdliEEv20rocsparse_direction_T2_S2_T1_S2_S2_PKT0_PKS3_PKS2_SA_21rocsparse_index_base_22rocsparse_matrix_type_20rocsparse_fill_mode_23rocsparse_storage_mode_P22rocsparse_data_status_,comdat
	.globl	_ZN9rocsparseL25check_matrix_gebsr_deviceILj256EdliEEv20rocsparse_direction_T2_S2_T1_S2_S2_PKT0_PKS3_PKS2_SA_21rocsparse_index_base_22rocsparse_matrix_type_20rocsparse_fill_mode_23rocsparse_storage_mode_P22rocsparse_data_status_ ; -- Begin function _ZN9rocsparseL25check_matrix_gebsr_deviceILj256EdliEEv20rocsparse_direction_T2_S2_T1_S2_S2_PKT0_PKS3_PKS2_SA_21rocsparse_index_base_22rocsparse_matrix_type_20rocsparse_fill_mode_23rocsparse_storage_mode_P22rocsparse_data_status_
	.p2align	8
	.type	_ZN9rocsparseL25check_matrix_gebsr_deviceILj256EdliEEv20rocsparse_direction_T2_S2_T1_S2_S2_PKT0_PKS3_PKS2_SA_21rocsparse_index_base_22rocsparse_matrix_type_20rocsparse_fill_mode_23rocsparse_storage_mode_P22rocsparse_data_status_,@function
_ZN9rocsparseL25check_matrix_gebsr_deviceILj256EdliEEv20rocsparse_direction_T2_S2_T1_S2_S2_PKT0_PKS3_PKS2_SA_21rocsparse_index_base_22rocsparse_matrix_type_20rocsparse_fill_mode_23rocsparse_storage_mode_P22rocsparse_data_status_: ; @_ZN9rocsparseL25check_matrix_gebsr_deviceILj256EdliEEv20rocsparse_direction_T2_S2_T1_S2_S2_PKT0_PKS3_PKS2_SA_21rocsparse_index_base_22rocsparse_matrix_type_20rocsparse_fill_mode_23rocsparse_storage_mode_P22rocsparse_data_status_
; %bb.0:
	s_load_dwordx4 s[16:19], s[4:5], 0x0
	v_mov_b32_e32 v5, 0
	v_lshl_or_b32 v4, s6, 8, v0
	s_waitcnt lgkmcnt(0)
	s_ashr_i32 s1, s17, 31
	s_mov_b32 s0, s17
	v_cmp_gt_i64_e32 vcc, s[0:1], v[4:5]
	s_and_saveexec_b64 s[0:1], vcc
	s_cbranch_execz .LBB9_63
; %bb.1:
	s_load_dwordx2 s[0:1], s[4:5], 0x28
	v_lshlrev_b64 v[0:1], 3, v[4:5]
	s_mov_b64 s[8:9], -1
	s_mov_b64 s[6:7], 0
	v_mov_b32_e32 v18, 3
	s_waitcnt lgkmcnt(0)
	v_mov_b32_e32 v2, s1
	v_add_co_u32_e32 v0, vcc, s0, v0
	v_addc_co_u32_e32 v1, vcc, v2, v1, vcc
	global_load_dwordx4 v[0:3], v[0:1], off
	s_load_dwordx2 s[0:1], s[0:1], 0x0
	s_waitcnt lgkmcnt(0)
	v_mov_b32_e32 v5, s1
	s_waitcnt vmcnt(0)
	v_subrev_co_u32_e32 v6, vcc, s0, v0
	v_subb_co_u32_e32 v7, vcc, v1, v5, vcc
	v_subrev_co_u32_e32 v8, vcc, s0, v2
	v_subb_co_u32_e32 v9, vcc, v3, v5, vcc
	v_cmp_lt_i64_e32 vcc, v[2:3], v[0:1]
	v_cmp_gt_i64_e64 s[2:3], 0, v[8:9]
	s_or_b64 s[2:3], s[2:3], vcc
	v_cmp_lt_i64_e64 s[0:1], -1, v[6:7]
	s_xor_b64 s[2:3], s[2:3], -1
	s_and_b64 s[0:1], s[0:1], s[2:3]
	s_and_saveexec_b64 s[24:25], s[0:1]
	s_cbranch_execz .LBB9_61
; %bb.2:
	v_cmp_lt_i64_e32 vcc, v[0:1], v[2:3]
	v_mov_b32_e32 v18, 3
	s_and_saveexec_b64 s[26:27], vcc
	s_cbranch_execz .LBB9_60
; %bb.3:
	s_load_dwordx4 s[20:23], s[4:5], 0x18
	s_load_dwordx8 s[8:15], s[4:5], 0x30
	s_cmp_lg_u32 s16, 0
	s_cselect_b64 s[28:29], -1, 0
	s_mov_b32 s40, 0
	s_waitcnt lgkmcnt(0)
	s_cmp_gt_i32 s21, 0
	s_mul_hi_i32 s1, s21, s20
	s_mul_i32 s0, s21, s20
	s_cselect_b64 s[30:31], -1, 0
	s_cmp_gt_i32 s20, 0
	v_mul_lo_u32 v2, s1, v6
	v_mul_lo_u32 v3, s0, v7
	v_mad_u64_u32 v[0:1], s[2:3], s0, v6, 0
	s_cselect_b64 s[34:35], -1, 0
	s_cmp_lg_u32 s13, 0
	v_add3_u32 v1, v1, v3, v2
	s_cselect_b64 s[36:37], -1, 0
	s_cmp_lg_u32 s14, 0
	v_lshlrev_b64 v[0:1], 3, v[0:1]
	s_cselect_b64 s[38:39], -1, 0
	s_cmp_lg_u32 s15, 0
	v_mov_b32_e32 v2, s23
	v_add_co_u32_e32 v0, vcc, s22, v0
	s_cselect_b64 s[14:15], -1, 0
	s_add_u32 s13, s10, -4
	v_addc_co_u32_e32 v1, vcc, v2, v1, vcc
	v_cndmask_b32_e64 v2, 0, 1, s[34:35]
	s_mov_b32 s17, 0
	s_addc_u32 s19, s11, -1
	s_lshl_b64 s[22:23], s[0:1], 3
	s_mov_b64 s[10:11], 0
	v_mov_b32_e32 v5, s9
	s_mov_b32 s41, 0x7ff00000
	v_cmp_ne_u32_e64 s[0:1], 1, v2
	v_pk_mov_b32 v[2:3], v[6:7], v[6:7] op_sel:[0,1]
                                        ; implicit-def: $sgpr42_sgpr43
                                        ; implicit-def: $sgpr44_sgpr45
                                        ; implicit-def: $sgpr46_sgpr47
	s_branch .LBB9_9
.LBB9_4:                                ;   in Loop: Header=BB9_9 Depth=1
	s_or_b64 exec, exec, s[6:7]
	s_andn2_b64 s[6:7], s[58:59], exec
	s_and_b64 s[54:55], s[54:55], exec
	s_or_b64 s[58:59], s[6:7], s[54:55]
	s_orn2_b64 s[2:3], s[2:3], exec
.LBB9_5:                                ;   in Loop: Header=BB9_9 Depth=1
	s_or_b64 exec, exec, s[60:61]
	s_andn2_b64 s[6:7], s[52:53], exec
	s_and_b64 s[52:53], s[58:59], exec
	s_or_b64 s[52:53], s[6:7], s[52:53]
	s_orn2_b64 s[6:7], s[2:3], exec
.LBB9_6:                                ;   in Loop: Header=BB9_9 Depth=1
	s_or_b64 exec, exec, s[56:57]
	s_orn2_b64 s[52:53], s[52:53], exec
	s_orn2_b64 s[2:3], s[6:7], exec
.LBB9_7:                                ;   in Loop: Header=BB9_9 Depth=1
	s_or_b64 exec, exec, s[50:51]
	s_andn2_b64 s[6:7], s[46:47], exec
	s_and_b64 s[46:47], s[52:53], exec
	s_or_b64 s[46:47], s[6:7], s[46:47]
	s_andn2_b64 s[6:7], s[44:45], exec
	s_and_b64 s[2:3], s[2:3], exec
	s_or_b64 s[44:45], s[6:7], s[2:3]
.LBB9_8:                                ;   in Loop: Header=BB9_9 Depth=1
	s_or_b64 exec, exec, s[48:49]
	s_and_b64 s[2:3], exec, s[44:45]
	s_or_b64 s[10:11], s[2:3], s[10:11]
	s_andn2_b64 s[2:3], s[42:43], exec
	s_and_b64 s[6:7], s[46:47], exec
	s_or_b64 s[42:43], s[2:3], s[6:7]
	s_andn2_b64 exec, exec, s[10:11]
	s_cbranch_execz .LBB9_59
.LBB9_9:                                ; =>This Loop Header: Depth=1
                                        ;     Child Loop BB9_34 Depth 2
                                        ;       Child Loop BB9_38 Depth 3
                                        ;     Child Loop BB9_17 Depth 2
                                        ;       Child Loop BB9_21 Depth 3
	v_lshlrev_b64 v[12:13], 2, v[2:3]
	v_add_co_u32_e32 v10, vcc, s8, v12
	v_addc_co_u32_e32 v11, vcc, v5, v13, vcc
	global_load_dword v16, v[10:11], off
	v_mov_b32_e32 v18, 4
	s_or_b64 s[46:47], s[46:47], exec
	s_or_b64 s[44:45], s[44:45], exec
	s_waitcnt vmcnt(0)
	v_subrev_u32_e32 v17, s12, v16
	v_cmp_lt_i32_e32 vcc, -1, v17
	v_cmp_gt_i32_e64 s[2:3], s18, v17
	s_and_b64 s[2:3], vcc, s[2:3]
	s_and_saveexec_b64 s[48:49], s[2:3]
	s_cbranch_execz .LBB9_8
; %bb.10:                               ;   in Loop: Header=BB9_9 Depth=1
	v_cmp_le_i64_e64 s[54:55], v[2:3], v[6:7]
	v_cmp_gt_i64_e32 vcc, v[2:3], v[6:7]
	v_mov_b32_e32 v18, 4
	s_mov_b64 s[6:7], s[54:55]
	s_and_saveexec_b64 s[50:51], vcc
	s_cbranch_execz .LBB9_12
; %bb.11:                               ;   in Loop: Header=BB9_9 Depth=1
	v_mov_b32_e32 v14, s19
	v_add_co_u32_e32 v12, vcc, s13, v12
	v_addc_co_u32_e32 v13, vcc, v14, v13, vcc
	global_load_dwordx2 v[12:13], v[12:13], off
	v_mov_b32_e32 v18, 5
	s_waitcnt vmcnt(0)
	v_subrev_u32_e32 v14, s12, v12
	v_cmp_lt_i32_e64 s[2:3], -1, v14
	v_cmp_gt_i32_e64 s[6:7], s18, v14
	s_and_b64 s[2:3], s[2:3], s[6:7]
	v_cmp_ne_u32_e32 vcc, v13, v12
	s_xor_b64 s[2:3], s[2:3], -1
	s_or_b64 s[2:3], vcc, s[2:3]
	s_andn2_b64 s[6:7], s[54:55], exec
	s_and_b64 s[2:3], s[2:3], exec
	s_or_b64 s[6:7], s[6:7], s[2:3]
.LBB9_12:                               ;   in Loop: Header=BB9_9 Depth=1
	s_or_b64 exec, exec, s[50:51]
	s_mov_b64 s[2:3], -1
	s_mov_b64 s[52:53], -1
	s_and_saveexec_b64 s[50:51], s[6:7]
	s_cbranch_execz .LBB9_7
; %bb.13:                               ;   in Loop: Header=BB9_9 Depth=1
	s_and_b64 vcc, exec, s[28:29]
	s_cbranch_vccz .LBB9_30
; %bb.14:                               ;   in Loop: Header=BB9_9 Depth=1
	s_and_b64 vcc, exec, s[30:31]
	s_cbranch_vccz .LBB9_29
; %bb.15:                               ;   in Loop: Header=BB9_9 Depth=1
	s_mov_b32 s16, 0
	s_mov_b64 s[6:7], 0
	s_mov_b32 s9, s16
                                        ; implicit-def: $sgpr2_sgpr3
                                        ; implicit-def: $sgpr52_sgpr53
                                        ; implicit-def: $sgpr56_sgpr57
	s_branch .LBB9_17
.LBB9_16:                               ;   in Loop: Header=BB9_17 Depth=2
	s_or_b64 exec, exec, s[64:65]
	s_xor_b64 s[60:61], s[60:61], -1
	s_and_b64 s[58:59], exec, s[58:59]
	s_or_b64 s[6:7], s[58:59], s[6:7]
	s_andn2_b64 s[52:53], s[52:53], exec
	s_and_b64 s[58:59], s[56:57], exec
	s_or_b64 s[52:53], s[52:53], s[58:59]
	s_andn2_b64 s[2:3], s[2:3], exec
	s_and_b64 s[58:59], s[60:61], exec
	s_or_b64 s[2:3], s[2:3], s[58:59]
	s_andn2_b64 exec, exec, s[6:7]
	s_cbranch_execz .LBB9_28
.LBB9_17:                               ;   Parent Loop BB9_9 Depth=1
                                        ; =>  This Loop Header: Depth=2
                                        ;       Child Loop BB9_21 Depth 3
	s_and_b64 vcc, exec, s[0:1]
	s_mov_b64 s[58:59], -1
	s_cbranch_vccnz .LBB9_25
; %bb.18:                               ;   in Loop: Header=BB9_17 Depth=2
	s_lshl_b64 s[60:61], s[16:17], 3
	v_mov_b32_e32 v13, s61
	v_add_co_u32_e32 v12, vcc, s60, v0
	v_addc_co_u32_e32 v13, vcc, v1, v13, vcc
	s_mov_b64 s[64:65], 0
	s_mov_b32 s33, s20
                                        ; implicit-def: $sgpr62_sgpr63
                                        ; implicit-def: $sgpr60_sgpr61
                                        ; implicit-def: $sgpr66_sgpr67
                                        ; implicit-def: $sgpr68_sgpr69
	s_branch .LBB9_21
.LBB9_19:                               ;   in Loop: Header=BB9_21 Depth=3
	s_or_b64 exec, exec, s[78:79]
	s_andn2_b64 s[68:69], s[68:69], exec
	s_and_b64 s[76:77], s[76:77], exec
	s_andn2_b64 s[66:67], s[66:67], exec
	s_and_b64 s[74:75], s[74:75], exec
	v_mov_b32_e32 v18, 2
	s_or_b64 s[68:69], s[68:69], s[76:77]
	s_or_b64 s[66:67], s[66:67], s[74:75]
.LBB9_20:                               ;   in Loop: Header=BB9_21 Depth=3
	s_or_b64 exec, exec, s[72:73]
	s_xor_b64 s[72:73], s[68:69], -1
	s_and_b64 s[74:75], exec, s[66:67]
	s_or_b64 s[64:65], s[74:75], s[64:65]
	s_andn2_b64 s[60:61], s[60:61], exec
	s_and_b64 s[70:71], s[70:71], exec
	s_or_b64 s[60:61], s[60:61], s[70:71]
	s_andn2_b64 s[62:63], s[62:63], exec
	s_and_b64 s[70:71], s[72:73], exec
	s_or_b64 s[62:63], s[62:63], s[70:71]
	s_andn2_b64 exec, exec, s[64:65]
	s_cbranch_execz .LBB9_24
.LBB9_21:                               ;   Parent Loop BB9_9 Depth=1
                                        ;     Parent Loop BB9_17 Depth=2
                                        ; =>    This Inner Loop Header: Depth=3
	global_load_dwordx2 v[14:15], v[12:13], off
	s_mov_b64 s[70:71], -1
	v_mov_b32_e32 v18, 1
	s_or_b64 s[68:69], s[68:69], exec
	s_or_b64 s[66:67], s[66:67], exec
	s_waitcnt vmcnt(0)
	v_cmp_neq_f64_e32 vcc, s[40:41], v[14:15]
	s_and_saveexec_b64 s[72:73], vcc
	s_xor_b64 s[72:73], exec, s[72:73]
	s_cbranch_execz .LBB9_20
; %bb.22:                               ;   in Loop: Header=BB9_21 Depth=3
	v_cmp_o_f64_e32 vcc, v[14:15], v[14:15]
	s_mov_b64 s[74:75], -1
	s_mov_b64 s[76:77], -1
	s_and_saveexec_b64 s[78:79], vcc
	s_cbranch_execz .LBB9_19
; %bb.23:                               ;   in Loop: Header=BB9_21 Depth=3
	s_add_i32 s33, s33, -1
	s_cmp_eq_u32 s33, 0
	v_add_co_u32_e32 v12, vcc, 8, v12
	s_cselect_b64 s[74:75], -1, 0
	v_addc_co_u32_e32 v13, vcc, 0, v13, vcc
	s_xor_b64 s[76:77], exec, -1
	s_orn2_b64 s[74:75], s[74:75], exec
	s_branch .LBB9_19
.LBB9_24:                               ;   in Loop: Header=BB9_17 Depth=2
	s_or_b64 exec, exec, s[64:65]
	s_branch .LBB9_26
.LBB9_25:                               ;   in Loop: Header=BB9_17 Depth=2
	s_mov_b64 s[62:63], -1
                                        ; implicit-def: $sgpr60_sgpr61
                                        ; implicit-def: $vgpr18
.LBB9_26:                               ;   in Loop: Header=BB9_17 Depth=2
	s_andn2_b64 s[56:57], s[56:57], exec
	s_and_b64 s[64:65], s[60:61], exec
	s_or_b64 s[56:57], s[56:57], s[64:65]
	s_and_saveexec_b64 s[64:65], s[62:63]
	s_cbranch_execz .LBB9_16
; %bb.27:                               ;   in Loop: Header=BB9_17 Depth=2
	s_add_i32 s9, s9, 1
	s_add_i32 s16, s16, s20
	s_cmp_eq_u32 s9, s21
	s_cselect_b64 s[58:59], -1, 0
	s_andn2_b64 s[60:61], s[60:61], exec
	s_andn2_b64 s[56:57], s[56:57], exec
	s_orn2_b64 s[58:59], s[58:59], exec
                                        ; implicit-def: $vgpr18
	s_branch .LBB9_16
.LBB9_28:                               ;   in Loop: Header=BB9_9 Depth=1
	s_or_b64 exec, exec, s[6:7]
.LBB9_29:                               ;   in Loop: Header=BB9_9 Depth=1
	s_branch .LBB9_46
.LBB9_30:                               ;   in Loop: Header=BB9_9 Depth=1
	s_mov_b64 s[2:3], 0
	s_cbranch_execz .LBB9_46
; %bb.31:                               ;   in Loop: Header=BB9_9 Depth=1
	s_and_b64 vcc, exec, s[34:35]
	s_cbranch_vccz .LBB9_50
; %bb.32:                               ;   in Loop: Header=BB9_9 Depth=1
	s_mov_b32 s16, 0
	s_mov_b64 s[6:7], 0
	s_mov_b32 s9, s16
                                        ; implicit-def: $sgpr2_sgpr3
                                        ; implicit-def: $sgpr52_sgpr53
                                        ; implicit-def: $sgpr56_sgpr57
	s_branch .LBB9_34
.LBB9_33:                               ;   in Loop: Header=BB9_34 Depth=2
	s_or_b64 exec, exec, s[64:65]
	s_xor_b64 s[60:61], s[60:61], -1
	s_and_b64 s[58:59], exec, s[58:59]
	s_or_b64 s[6:7], s[58:59], s[6:7]
	s_andn2_b64 s[52:53], s[52:53], exec
	s_and_b64 s[58:59], s[56:57], exec
	s_or_b64 s[52:53], s[52:53], s[58:59]
	s_andn2_b64 s[2:3], s[2:3], exec
	s_and_b64 s[58:59], s[60:61], exec
	s_or_b64 s[2:3], s[2:3], s[58:59]
	s_andn2_b64 exec, exec, s[6:7]
	s_cbranch_execz .LBB9_45
.LBB9_34:                               ;   Parent Loop BB9_9 Depth=1
                                        ; =>  This Loop Header: Depth=2
                                        ;       Child Loop BB9_38 Depth 3
	s_andn2_b64 vcc, exec, s[30:31]
	s_mov_b64 s[58:59], -1
	s_cbranch_vccnz .LBB9_42
; %bb.35:                               ;   in Loop: Header=BB9_34 Depth=2
	s_lshl_b64 s[60:61], s[16:17], 3
	v_mov_b32_e32 v13, s61
	v_add_co_u32_e32 v12, vcc, s60, v0
	v_addc_co_u32_e32 v13, vcc, v1, v13, vcc
	s_mov_b64 s[64:65], 0
	s_mov_b32 s33, s21
                                        ; implicit-def: $sgpr62_sgpr63
                                        ; implicit-def: $sgpr60_sgpr61
                                        ; implicit-def: $sgpr66_sgpr67
                                        ; implicit-def: $sgpr68_sgpr69
	s_branch .LBB9_38
.LBB9_36:                               ;   in Loop: Header=BB9_38 Depth=3
	s_or_b64 exec, exec, s[78:79]
	s_andn2_b64 s[68:69], s[68:69], exec
	s_and_b64 s[76:77], s[76:77], exec
	s_andn2_b64 s[66:67], s[66:67], exec
	s_and_b64 s[74:75], s[74:75], exec
	v_mov_b32_e32 v18, 2
	s_or_b64 s[68:69], s[68:69], s[76:77]
	s_or_b64 s[66:67], s[66:67], s[74:75]
.LBB9_37:                               ;   in Loop: Header=BB9_38 Depth=3
	s_or_b64 exec, exec, s[72:73]
	s_xor_b64 s[72:73], s[68:69], -1
	s_and_b64 s[74:75], exec, s[66:67]
	s_or_b64 s[64:65], s[74:75], s[64:65]
	s_andn2_b64 s[60:61], s[60:61], exec
	s_and_b64 s[70:71], s[70:71], exec
	s_or_b64 s[60:61], s[60:61], s[70:71]
	s_andn2_b64 s[62:63], s[62:63], exec
	s_and_b64 s[70:71], s[72:73], exec
	s_or_b64 s[62:63], s[62:63], s[70:71]
	s_andn2_b64 exec, exec, s[64:65]
	s_cbranch_execz .LBB9_41
.LBB9_38:                               ;   Parent Loop BB9_9 Depth=1
                                        ;     Parent Loop BB9_34 Depth=2
                                        ; =>    This Inner Loop Header: Depth=3
	global_load_dwordx2 v[14:15], v[12:13], off
	s_mov_b64 s[70:71], -1
	v_mov_b32_e32 v18, 1
	s_or_b64 s[68:69], s[68:69], exec
	s_or_b64 s[66:67], s[66:67], exec
	s_waitcnt vmcnt(0)
	v_cmp_neq_f64_e32 vcc, s[40:41], v[14:15]
	s_and_saveexec_b64 s[72:73], vcc
	s_xor_b64 s[72:73], exec, s[72:73]
	s_cbranch_execz .LBB9_37
; %bb.39:                               ;   in Loop: Header=BB9_38 Depth=3
	v_cmp_o_f64_e32 vcc, v[14:15], v[14:15]
	s_mov_b64 s[74:75], -1
	s_mov_b64 s[76:77], -1
	s_and_saveexec_b64 s[78:79], vcc
	s_cbranch_execz .LBB9_36
; %bb.40:                               ;   in Loop: Header=BB9_38 Depth=3
	s_add_i32 s33, s33, -1
	s_cmp_eq_u32 s33, 0
	v_add_co_u32_e32 v12, vcc, 8, v12
	s_cselect_b64 s[74:75], -1, 0
	v_addc_co_u32_e32 v13, vcc, 0, v13, vcc
	s_xor_b64 s[76:77], exec, -1
	s_orn2_b64 s[74:75], s[74:75], exec
	s_branch .LBB9_36
.LBB9_41:                               ;   in Loop: Header=BB9_34 Depth=2
	s_or_b64 exec, exec, s[64:65]
	s_branch .LBB9_43
.LBB9_42:                               ;   in Loop: Header=BB9_34 Depth=2
	s_mov_b64 s[62:63], -1
                                        ; implicit-def: $sgpr60_sgpr61
                                        ; implicit-def: $vgpr18
.LBB9_43:                               ;   in Loop: Header=BB9_34 Depth=2
	s_andn2_b64 s[56:57], s[56:57], exec
	s_and_b64 s[64:65], s[60:61], exec
	s_or_b64 s[56:57], s[56:57], s[64:65]
	s_and_saveexec_b64 s[64:65], s[62:63]
	s_cbranch_execz .LBB9_33
; %bb.44:                               ;   in Loop: Header=BB9_34 Depth=2
	s_add_i32 s9, s9, 1
	s_add_i32 s16, s16, s21
	s_cmp_eq_u32 s9, s20
	s_cselect_b64 s[58:59], -1, 0
	s_andn2_b64 s[60:61], s[60:61], exec
	s_andn2_b64 s[56:57], s[56:57], exec
	s_orn2_b64 s[58:59], s[58:59], exec
                                        ; implicit-def: $vgpr18
	s_branch .LBB9_33
.LBB9_45:                               ;   in Loop: Header=BB9_9 Depth=1
	s_or_b64 exec, exec, s[6:7]
.LBB9_46:                               ;   in Loop: Header=BB9_9 Depth=1
	s_mov_b64 s[6:7], -1
	s_and_saveexec_b64 s[56:57], s[2:3]
	s_cbranch_execz .LBB9_6
.LBB9_47:                               ;   in Loop: Header=BB9_9 Depth=1
	s_mov_b64 s[2:3], -1
	s_and_b64 vcc, exec, s[36:37]
	s_cbranch_vccz .LBB9_51
; %bb.48:                               ;   in Loop: Header=BB9_9 Depth=1
	s_and_b64 vcc, exec, s[38:39]
	s_cbranch_vccz .LBB9_52
; %bb.49:                               ;   in Loop: Header=BB9_9 Depth=1
	v_cmp_le_u32_e32 vcc, v4, v17
	v_mov_b32_e32 v18, 7
	s_or_b64 s[58:59], s[52:53], exec
	s_and_b64 s[6:7], vcc, exec
	s_cbranch_execz .LBB9_53
	s_branch .LBB9_54
.LBB9_50:                               ;   in Loop: Header=BB9_9 Depth=1
	s_mov_b64 s[2:3], -1
	s_mov_b64 s[6:7], -1
	s_and_saveexec_b64 s[56:57], s[2:3]
	s_cbranch_execz .LBB9_6
	s_branch .LBB9_47
.LBB9_51:                               ;   in Loop: Header=BB9_9 Depth=1
	s_mov_b64 s[58:59], s[52:53]
	s_branch .LBB9_54
.LBB9_52:                               ;   in Loop: Header=BB9_9 Depth=1
	s_mov_b64 s[6:7], 0
	s_mov_b64 s[58:59], s[52:53]
.LBB9_53:                               ;   in Loop: Header=BB9_9 Depth=1
	v_cmp_ge_u32_e32 vcc, v4, v17
	s_andn2_b64 s[6:7], s[6:7], exec
	s_and_b64 s[60:61], vcc, exec
	v_mov_b32_e32 v18, 7
	s_or_b64 s[58:59], s[58:59], exec
	s_or_b64 s[6:7], s[6:7], s[60:61]
.LBB9_54:                               ;   in Loop: Header=BB9_9 Depth=1
	s_and_saveexec_b64 s[60:61], s[6:7]
	s_cbranch_execz .LBB9_5
; %bb.55:                               ;   in Loop: Header=BB9_9 Depth=1
	s_or_b64 s[62:63], s[14:15], s[54:55]
	s_xor_b64 s[2:3], s[62:63], -1
	s_mov_b64 s[54:55], s[58:59]
	s_and_saveexec_b64 s[64:65], s[2:3]
	s_cbranch_execz .LBB9_57
; %bb.56:                               ;   in Loop: Header=BB9_9 Depth=1
	global_load_dword v10, v[10:11], off offset:-4
	v_mov_b32_e32 v18, 6
	s_or_b64 s[54:55], s[58:59], exec
	s_waitcnt vmcnt(0)
	v_subrev_u32_e32 v11, s12, v10
	v_cmp_lt_i32_e64 s[2:3], -1, v11
	v_cmp_gt_i32_e64 s[6:7], s18, v11
	s_and_b64 s[2:3], s[2:3], s[6:7]
	v_cmp_gt_i32_e32 vcc, v16, v10
	s_xor_b64 s[2:3], s[2:3], -1
	s_or_b64 s[2:3], vcc, s[2:3]
	s_andn2_b64 s[6:7], s[62:63], exec
	s_and_b64 s[2:3], s[2:3], exec
	s_or_b64 s[62:63], s[6:7], s[2:3]
.LBB9_57:                               ;   in Loop: Header=BB9_9 Depth=1
	s_or_b64 exec, exec, s[64:65]
	s_mov_b64 s[2:3], -1
	s_and_saveexec_b64 s[6:7], s[62:63]
	s_cbranch_execz .LBB9_4
; %bb.58:                               ;   in Loop: Header=BB9_9 Depth=1
	v_add_co_u32_e32 v2, vcc, 1, v2
	v_addc_co_u32_e32 v3, vcc, 0, v3, vcc
	v_mov_b32_e32 v10, s23
	v_add_co_u32_e32 v0, vcc, s22, v0
	v_addc_co_u32_e32 v1, vcc, v1, v10, vcc
	v_cmp_ge_i64_e32 vcc, v[2:3], v[8:9]
	s_andn2_b64 s[54:55], s[54:55], exec
	s_orn2_b64 s[2:3], vcc, exec
                                        ; implicit-def: $vgpr18
	s_branch .LBB9_4
.LBB9_59:
	s_or_b64 exec, exec, s[10:11]
	s_and_b64 s[6:7], s[42:43], exec
.LBB9_60:
	s_or_b64 exec, exec, s[26:27]
	s_orn2_b64 s[8:9], s[6:7], exec
.LBB9_61:
	s_or_b64 exec, exec, s[24:25]
	s_and_b64 exec, exec, s[8:9]
	s_cbranch_execz .LBB9_63
; %bb.62:
	s_load_dwordx2 s[0:1], s[4:5], 0x50
	v_mov_b32_e32 v0, 0
	s_waitcnt lgkmcnt(0)
	global_store_dword v0, v18, s[0:1]
.LBB9_63:
	s_endpgm
	.section	.rodata,"a",@progbits
	.p2align	6, 0x0
	.amdhsa_kernel _ZN9rocsparseL25check_matrix_gebsr_deviceILj256EdliEEv20rocsparse_direction_T2_S2_T1_S2_S2_PKT0_PKS3_PKS2_SA_21rocsparse_index_base_22rocsparse_matrix_type_20rocsparse_fill_mode_23rocsparse_storage_mode_P22rocsparse_data_status_
		.amdhsa_group_segment_fixed_size 0
		.amdhsa_private_segment_fixed_size 0
		.amdhsa_kernarg_size 88
		.amdhsa_user_sgpr_count 6
		.amdhsa_user_sgpr_private_segment_buffer 1
		.amdhsa_user_sgpr_dispatch_ptr 0
		.amdhsa_user_sgpr_queue_ptr 0
		.amdhsa_user_sgpr_kernarg_segment_ptr 1
		.amdhsa_user_sgpr_dispatch_id 0
		.amdhsa_user_sgpr_flat_scratch_init 0
		.amdhsa_user_sgpr_kernarg_preload_length 0
		.amdhsa_user_sgpr_kernarg_preload_offset 0
		.amdhsa_user_sgpr_private_segment_size 0
		.amdhsa_uses_dynamic_stack 0
		.amdhsa_system_sgpr_private_segment_wavefront_offset 0
		.amdhsa_system_sgpr_workgroup_id_x 1
		.amdhsa_system_sgpr_workgroup_id_y 0
		.amdhsa_system_sgpr_workgroup_id_z 0
		.amdhsa_system_sgpr_workgroup_info 0
		.amdhsa_system_vgpr_workitem_id 0
		.amdhsa_next_free_vgpr 19
		.amdhsa_next_free_sgpr 80
		.amdhsa_accum_offset 20
		.amdhsa_reserve_vcc 1
		.amdhsa_reserve_flat_scratch 0
		.amdhsa_float_round_mode_32 0
		.amdhsa_float_round_mode_16_64 0
		.amdhsa_float_denorm_mode_32 3
		.amdhsa_float_denorm_mode_16_64 3
		.amdhsa_dx10_clamp 1
		.amdhsa_ieee_mode 1
		.amdhsa_fp16_overflow 0
		.amdhsa_tg_split 0
		.amdhsa_exception_fp_ieee_invalid_op 0
		.amdhsa_exception_fp_denorm_src 0
		.amdhsa_exception_fp_ieee_div_zero 0
		.amdhsa_exception_fp_ieee_overflow 0
		.amdhsa_exception_fp_ieee_underflow 0
		.amdhsa_exception_fp_ieee_inexact 0
		.amdhsa_exception_int_div_zero 0
	.end_amdhsa_kernel
	.section	.text._ZN9rocsparseL25check_matrix_gebsr_deviceILj256EdliEEv20rocsparse_direction_T2_S2_T1_S2_S2_PKT0_PKS3_PKS2_SA_21rocsparse_index_base_22rocsparse_matrix_type_20rocsparse_fill_mode_23rocsparse_storage_mode_P22rocsparse_data_status_,"axG",@progbits,_ZN9rocsparseL25check_matrix_gebsr_deviceILj256EdliEEv20rocsparse_direction_T2_S2_T1_S2_S2_PKT0_PKS3_PKS2_SA_21rocsparse_index_base_22rocsparse_matrix_type_20rocsparse_fill_mode_23rocsparse_storage_mode_P22rocsparse_data_status_,comdat
.Lfunc_end9:
	.size	_ZN9rocsparseL25check_matrix_gebsr_deviceILj256EdliEEv20rocsparse_direction_T2_S2_T1_S2_S2_PKT0_PKS3_PKS2_SA_21rocsparse_index_base_22rocsparse_matrix_type_20rocsparse_fill_mode_23rocsparse_storage_mode_P22rocsparse_data_status_, .Lfunc_end9-_ZN9rocsparseL25check_matrix_gebsr_deviceILj256EdliEEv20rocsparse_direction_T2_S2_T1_S2_S2_PKT0_PKS3_PKS2_SA_21rocsparse_index_base_22rocsparse_matrix_type_20rocsparse_fill_mode_23rocsparse_storage_mode_P22rocsparse_data_status_
                                        ; -- End function
	.section	.AMDGPU.csdata,"",@progbits
; Kernel info:
; codeLenInByte = 1736
; NumSgprs: 84
; NumVgprs: 19
; NumAgprs: 0
; TotalNumVgprs: 19
; ScratchSize: 0
; MemoryBound: 0
; FloatMode: 240
; IeeeMode: 1
; LDSByteSize: 0 bytes/workgroup (compile time only)
; SGPRBlocks: 10
; VGPRBlocks: 2
; NumSGPRsForWavesPerEU: 84
; NumVGPRsForWavesPerEU: 19
; AccumOffset: 20
; Occupancy: 8
; WaveLimiterHint : 0
; COMPUTE_PGM_RSRC2:SCRATCH_EN: 0
; COMPUTE_PGM_RSRC2:USER_SGPR: 6
; COMPUTE_PGM_RSRC2:TRAP_HANDLER: 0
; COMPUTE_PGM_RSRC2:TGID_X_EN: 1
; COMPUTE_PGM_RSRC2:TGID_Y_EN: 0
; COMPUTE_PGM_RSRC2:TGID_Z_EN: 0
; COMPUTE_PGM_RSRC2:TIDIG_COMP_CNT: 0
; COMPUTE_PGM_RSRC3_GFX90A:ACCUM_OFFSET: 4
; COMPUTE_PGM_RSRC3_GFX90A:TG_SPLIT: 0
	.section	.text._ZN9rocsparseL25check_matrix_gebsr_deviceILj256E21rocsparse_complex_numIfEliEEv20rocsparse_direction_T2_S4_T1_S4_S4_PKT0_PKS5_PKS4_SC_21rocsparse_index_base_22rocsparse_matrix_type_20rocsparse_fill_mode_23rocsparse_storage_mode_P22rocsparse_data_status_,"axG",@progbits,_ZN9rocsparseL25check_matrix_gebsr_deviceILj256E21rocsparse_complex_numIfEliEEv20rocsparse_direction_T2_S4_T1_S4_S4_PKT0_PKS5_PKS4_SC_21rocsparse_index_base_22rocsparse_matrix_type_20rocsparse_fill_mode_23rocsparse_storage_mode_P22rocsparse_data_status_,comdat
	.globl	_ZN9rocsparseL25check_matrix_gebsr_deviceILj256E21rocsparse_complex_numIfEliEEv20rocsparse_direction_T2_S4_T1_S4_S4_PKT0_PKS5_PKS4_SC_21rocsparse_index_base_22rocsparse_matrix_type_20rocsparse_fill_mode_23rocsparse_storage_mode_P22rocsparse_data_status_ ; -- Begin function _ZN9rocsparseL25check_matrix_gebsr_deviceILj256E21rocsparse_complex_numIfEliEEv20rocsparse_direction_T2_S4_T1_S4_S4_PKT0_PKS5_PKS4_SC_21rocsparse_index_base_22rocsparse_matrix_type_20rocsparse_fill_mode_23rocsparse_storage_mode_P22rocsparse_data_status_
	.p2align	8
	.type	_ZN9rocsparseL25check_matrix_gebsr_deviceILj256E21rocsparse_complex_numIfEliEEv20rocsparse_direction_T2_S4_T1_S4_S4_PKT0_PKS5_PKS4_SC_21rocsparse_index_base_22rocsparse_matrix_type_20rocsparse_fill_mode_23rocsparse_storage_mode_P22rocsparse_data_status_,@function
_ZN9rocsparseL25check_matrix_gebsr_deviceILj256E21rocsparse_complex_numIfEliEEv20rocsparse_direction_T2_S4_T1_S4_S4_PKT0_PKS5_PKS4_SC_21rocsparse_index_base_22rocsparse_matrix_type_20rocsparse_fill_mode_23rocsparse_storage_mode_P22rocsparse_data_status_: ; @_ZN9rocsparseL25check_matrix_gebsr_deviceILj256E21rocsparse_complex_numIfEliEEv20rocsparse_direction_T2_S4_T1_S4_S4_PKT0_PKS5_PKS4_SC_21rocsparse_index_base_22rocsparse_matrix_type_20rocsparse_fill_mode_23rocsparse_storage_mode_P22rocsparse_data_status_
; %bb.0:
	s_load_dwordx4 s[16:19], s[4:5], 0x0
	v_mov_b32_e32 v5, 0
	v_lshl_or_b32 v4, s6, 8, v0
	s_waitcnt lgkmcnt(0)
	s_ashr_i32 s1, s17, 31
	s_mov_b32 s0, s17
	v_cmp_gt_i64_e32 vcc, s[0:1], v[4:5]
	s_and_saveexec_b64 s[0:1], vcc
	s_cbranch_execz .LBB10_63
; %bb.1:
	s_load_dwordx2 s[0:1], s[4:5], 0x28
	v_lshlrev_b64 v[0:1], 3, v[4:5]
	s_mov_b64 s[8:9], -1
	s_mov_b64 s[6:7], 0
	v_mov_b32_e32 v16, 3
	s_waitcnt lgkmcnt(0)
	v_mov_b32_e32 v2, s1
	v_add_co_u32_e32 v0, vcc, s0, v0
	v_addc_co_u32_e32 v1, vcc, v2, v1, vcc
	global_load_dwordx4 v[0:3], v[0:1], off
	s_load_dwordx2 s[0:1], s[0:1], 0x0
	s_waitcnt lgkmcnt(0)
	v_mov_b32_e32 v5, s1
	s_waitcnt vmcnt(0)
	v_subrev_co_u32_e32 v6, vcc, s0, v0
	v_subb_co_u32_e32 v7, vcc, v1, v5, vcc
	v_subrev_co_u32_e32 v8, vcc, s0, v2
	v_subb_co_u32_e32 v9, vcc, v3, v5, vcc
	v_cmp_lt_i64_e32 vcc, v[2:3], v[0:1]
	v_cmp_gt_i64_e64 s[2:3], 0, v[8:9]
	s_or_b64 s[2:3], s[2:3], vcc
	v_cmp_lt_i64_e64 s[0:1], -1, v[6:7]
	s_xor_b64 s[2:3], s[2:3], -1
	s_and_b64 s[0:1], s[0:1], s[2:3]
	s_and_saveexec_b64 s[24:25], s[0:1]
	s_cbranch_execz .LBB10_61
; %bb.2:
	v_cmp_lt_i64_e32 vcc, v[0:1], v[2:3]
	v_mov_b32_e32 v16, 3
	s_and_saveexec_b64 s[26:27], vcc
	s_cbranch_execz .LBB10_60
; %bb.3:
	s_load_dwordx4 s[20:23], s[4:5], 0x18
	s_load_dwordx8 s[8:15], s[4:5], 0x30
	s_cmp_lg_u32 s16, 0
	s_cselect_b64 s[28:29], -1, 0
	s_mov_b32 s17, 0
	s_waitcnt lgkmcnt(0)
	s_cmp_gt_i32 s21, 0
	s_mul_hi_i32 s1, s21, s20
	s_mul_i32 s0, s21, s20
	s_cselect_b64 s[30:31], -1, 0
	s_cmp_gt_i32 s20, 0
	v_mul_lo_u32 v2, s1, v6
	v_mul_lo_u32 v3, s0, v7
	v_mad_u64_u32 v[0:1], s[2:3], s0, v6, 0
	s_cselect_b64 s[34:35], -1, 0
	s_cmp_lg_u32 s13, 0
	v_add3_u32 v1, v1, v3, v2
	s_cselect_b64 s[36:37], -1, 0
	s_cmp_lg_u32 s14, 0
	v_lshlrev_b64 v[0:1], 3, v[0:1]
	s_cselect_b64 s[38:39], -1, 0
	s_cmp_lg_u32 s15, 0
	v_mov_b32_e32 v2, s23
	v_add_co_u32_e32 v0, vcc, s22, v0
	s_cselect_b64 s[14:15], -1, 0
	s_add_u32 s13, s10, -4
	v_addc_co_u32_e32 v1, vcc, v2, v1, vcc
	v_cndmask_b32_e64 v2, 0, 1, s[34:35]
	s_addc_u32 s19, s11, -1
	s_lshl_b64 s[22:23], s[0:1], 3
	s_mov_b64 s[10:11], 0
	v_mov_b32_e32 v5, s9
	s_mov_b32 s9, 0x7f800000
	v_cmp_ne_u32_e64 s[0:1], 1, v2
	v_pk_mov_b32 v[2:3], v[6:7], v[6:7] op_sel:[0,1]
                                        ; implicit-def: $sgpr40_sgpr41
                                        ; implicit-def: $sgpr42_sgpr43
                                        ; implicit-def: $sgpr44_sgpr45
	s_branch .LBB10_9
.LBB10_4:                               ;   in Loop: Header=BB10_9 Depth=1
	s_or_b64 exec, exec, s[6:7]
	s_andn2_b64 s[6:7], s[56:57], exec
	s_and_b64 s[52:53], s[52:53], exec
	s_or_b64 s[56:57], s[6:7], s[52:53]
	s_orn2_b64 s[2:3], s[2:3], exec
.LBB10_5:                               ;   in Loop: Header=BB10_9 Depth=1
	s_or_b64 exec, exec, s[58:59]
	s_andn2_b64 s[6:7], s[50:51], exec
	s_and_b64 s[50:51], s[56:57], exec
	s_or_b64 s[50:51], s[6:7], s[50:51]
	s_orn2_b64 s[2:3], s[2:3], exec
.LBB10_6:                               ;   in Loop: Header=BB10_9 Depth=1
	s_or_b64 exec, exec, s[54:55]
	s_orn2_b64 s[6:7], s[50:51], exec
	s_orn2_b64 s[2:3], s[2:3], exec
.LBB10_7:                               ;   in Loop: Header=BB10_9 Depth=1
	s_or_b64 exec, exec, s[48:49]
	s_andn2_b64 s[44:45], s[44:45], exec
	s_and_b64 s[6:7], s[6:7], exec
	s_or_b64 s[44:45], s[44:45], s[6:7]
	s_andn2_b64 s[6:7], s[42:43], exec
	s_and_b64 s[2:3], s[2:3], exec
	s_or_b64 s[42:43], s[6:7], s[2:3]
.LBB10_8:                               ;   in Loop: Header=BB10_9 Depth=1
	s_or_b64 exec, exec, s[46:47]
	s_and_b64 s[2:3], exec, s[42:43]
	s_or_b64 s[10:11], s[2:3], s[10:11]
	s_andn2_b64 s[2:3], s[40:41], exec
	s_and_b64 s[6:7], s[44:45], exec
	s_or_b64 s[40:41], s[2:3], s[6:7]
	s_andn2_b64 exec, exec, s[10:11]
	s_cbranch_execz .LBB10_59
.LBB10_9:                               ; =>This Loop Header: Depth=1
                                        ;     Child Loop BB10_34 Depth 2
                                        ;       Child Loop BB10_38 Depth 3
                                        ;     Child Loop BB10_17 Depth 2
                                        ;       Child Loop BB10_21 Depth 3
	v_lshlrev_b64 v[12:13], 2, v[2:3]
	v_add_co_u32_e32 v10, vcc, s8, v12
	v_addc_co_u32_e32 v11, vcc, v5, v13, vcc
	global_load_dword v14, v[10:11], off
	v_mov_b32_e32 v16, 4
	s_or_b64 s[44:45], s[44:45], exec
	s_or_b64 s[42:43], s[42:43], exec
	s_waitcnt vmcnt(0)
	v_subrev_u32_e32 v15, s12, v14
	v_cmp_lt_i32_e32 vcc, -1, v15
	v_cmp_gt_i32_e64 s[2:3], s18, v15
	s_and_b64 s[2:3], vcc, s[2:3]
	s_and_saveexec_b64 s[46:47], s[2:3]
	s_cbranch_execz .LBB10_8
; %bb.10:                               ;   in Loop: Header=BB10_9 Depth=1
	v_cmp_le_i64_e64 s[52:53], v[2:3], v[6:7]
	v_cmp_gt_i64_e32 vcc, v[2:3], v[6:7]
	v_mov_b32_e32 v16, 4
	s_mov_b64 s[50:51], s[52:53]
	s_and_saveexec_b64 s[48:49], vcc
	s_cbranch_execz .LBB10_12
; %bb.11:                               ;   in Loop: Header=BB10_9 Depth=1
	v_mov_b32_e32 v16, s19
	v_add_co_u32_e32 v12, vcc, s13, v12
	v_addc_co_u32_e32 v13, vcc, v16, v13, vcc
	global_load_dwordx2 v[12:13], v[12:13], off
	v_mov_b32_e32 v16, 5
	s_waitcnt vmcnt(0)
	v_subrev_u32_e32 v17, s12, v12
	v_cmp_lt_i32_e64 s[2:3], -1, v17
	v_cmp_gt_i32_e64 s[6:7], s18, v17
	s_and_b64 s[2:3], s[2:3], s[6:7]
	v_cmp_ne_u32_e32 vcc, v13, v12
	s_xor_b64 s[2:3], s[2:3], -1
	s_or_b64 s[2:3], vcc, s[2:3]
	s_andn2_b64 s[6:7], s[52:53], exec
	s_and_b64 s[2:3], s[2:3], exec
	s_or_b64 s[50:51], s[6:7], s[2:3]
.LBB10_12:                              ;   in Loop: Header=BB10_9 Depth=1
	s_or_b64 exec, exec, s[48:49]
	s_mov_b64 s[2:3], -1
	s_mov_b64 s[6:7], -1
	s_and_saveexec_b64 s[48:49], s[50:51]
	s_cbranch_execz .LBB10_7
; %bb.13:                               ;   in Loop: Header=BB10_9 Depth=1
	s_and_b64 vcc, exec, s[28:29]
	s_cbranch_vccz .LBB10_29
; %bb.14:                               ;   in Loop: Header=BB10_9 Depth=1
	s_and_b64 vcc, exec, s[30:31]
	s_cbranch_vccz .LBB10_30
; %bb.15:                               ;   in Loop: Header=BB10_9 Depth=1
	s_mov_b32 s16, 0
	s_mov_b64 s[54:55], 0
	s_mov_b32 s33, s16
                                        ; implicit-def: $sgpr6_sgpr7
                                        ; implicit-def: $sgpr50_sgpr51
                                        ; implicit-def: $sgpr56_sgpr57
	s_branch .LBB10_17
.LBB10_16:                              ;   in Loop: Header=BB10_17 Depth=2
	s_or_b64 exec, exec, s[2:3]
	s_xor_b64 s[2:3], s[60:61], -1
	s_and_b64 s[58:59], exec, s[58:59]
	s_or_b64 s[54:55], s[58:59], s[54:55]
	s_andn2_b64 s[50:51], s[50:51], exec
	s_and_b64 s[58:59], s[56:57], exec
	s_andn2_b64 s[6:7], s[6:7], exec
	s_and_b64 s[2:3], s[2:3], exec
	s_or_b64 s[50:51], s[50:51], s[58:59]
	s_or_b64 s[6:7], s[6:7], s[2:3]
	s_andn2_b64 exec, exec, s[54:55]
	s_cbranch_execz .LBB10_28
.LBB10_17:                              ;   Parent Loop BB10_9 Depth=1
                                        ; =>  This Loop Header: Depth=2
                                        ;       Child Loop BB10_21 Depth 3
	s_and_b64 vcc, exec, s[0:1]
	s_mov_b64 s[58:59], -1
	s_cbranch_vccnz .LBB10_25
; %bb.18:                               ;   in Loop: Header=BB10_17 Depth=2
	s_lshl_b64 s[66:67], s[16:17], 3
	s_mov_b64 s[64:65], 0
	s_mov_b32 s80, s20
                                        ; implicit-def: $sgpr62_sgpr63
                                        ; implicit-def: $sgpr60_sgpr61
                                        ; implicit-def: $sgpr68_sgpr69
                                        ; implicit-def: $sgpr70_sgpr71
	s_branch .LBB10_21
.LBB10_19:                              ;   in Loop: Header=BB10_21 Depth=3
	s_or_b64 exec, exec, s[78:79]
	s_andn2_b64 s[70:71], s[70:71], exec
	s_and_b64 s[76:77], s[76:77], exec
	s_andn2_b64 s[68:69], s[68:69], exec
	s_and_b64 s[2:3], s[2:3], exec
	v_mov_b32_e32 v16, 2
	s_or_b64 s[70:71], s[70:71], s[76:77]
	s_or_b64 s[68:69], s[68:69], s[2:3]
.LBB10_20:                              ;   in Loop: Header=BB10_21 Depth=3
	s_or_b64 exec, exec, s[74:75]
	s_xor_b64 s[2:3], s[70:71], -1
	s_and_b64 s[74:75], exec, s[68:69]
	s_or_b64 s[64:65], s[74:75], s[64:65]
	s_andn2_b64 s[60:61], s[60:61], exec
	s_and_b64 s[72:73], s[72:73], exec
	s_andn2_b64 s[62:63], s[62:63], exec
	s_and_b64 s[2:3], s[2:3], exec
	s_or_b64 s[60:61], s[60:61], s[72:73]
	s_or_b64 s[62:63], s[62:63], s[2:3]
	s_andn2_b64 exec, exec, s[64:65]
	s_cbranch_execz .LBB10_24
.LBB10_21:                              ;   Parent Loop BB10_9 Depth=1
                                        ;     Parent Loop BB10_17 Depth=2
                                        ; =>    This Inner Loop Header: Depth=3
	v_mov_b32_e32 v13, s67
	v_add_co_u32_e32 v12, vcc, s66, v0
	v_addc_co_u32_e32 v13, vcc, v1, v13, vcc
	global_load_dwordx2 v[12:13], v[12:13], off
	s_mov_b64 s[72:73], -1
	v_mov_b32_e32 v16, 1
	s_or_b64 s[70:71], s[70:71], exec
	s_or_b64 s[68:69], s[68:69], exec
	s_waitcnt vmcnt(0)
	v_cmp_neq_f32_e32 vcc, s9, v12
	v_cmp_neq_f32_e64 s[2:3], s9, v13
	s_and_b64 s[2:3], vcc, s[2:3]
	s_and_saveexec_b64 s[74:75], s[2:3]
	s_xor_b64 s[74:75], exec, s[74:75]
	s_cbranch_execz .LBB10_20
; %bb.22:                               ;   in Loop: Header=BB10_21 Depth=3
	v_cmp_o_f32_e32 vcc, v12, v12
	v_cmp_o_f32_e64 s[2:3], v13, v13
	s_and_b64 s[82:83], vcc, s[2:3]
	s_mov_b64 s[2:3], -1
	s_mov_b64 s[76:77], -1
	s_and_saveexec_b64 s[78:79], s[82:83]
	s_cbranch_execz .LBB10_19
; %bb.23:                               ;   in Loop: Header=BB10_21 Depth=3
	s_add_i32 s80, s80, -1
	s_add_u32 s66, s66, 8
	s_addc_u32 s67, s67, 0
	s_cmp_eq_u32 s80, 0
	s_cselect_b64 s[2:3], -1, 0
	s_xor_b64 s[76:77], exec, -1
	s_orn2_b64 s[2:3], s[2:3], exec
	s_branch .LBB10_19
.LBB10_24:                              ;   in Loop: Header=BB10_17 Depth=2
	s_or_b64 exec, exec, s[64:65]
	s_branch .LBB10_26
.LBB10_25:                              ;   in Loop: Header=BB10_17 Depth=2
	s_mov_b64 s[62:63], -1
                                        ; implicit-def: $sgpr60_sgpr61
                                        ; implicit-def: $vgpr16
.LBB10_26:                              ;   in Loop: Header=BB10_17 Depth=2
	s_andn2_b64 s[2:3], s[56:57], exec
	s_and_b64 s[56:57], s[60:61], exec
	s_or_b64 s[56:57], s[2:3], s[56:57]
	s_and_saveexec_b64 s[2:3], s[62:63]
	s_cbranch_execz .LBB10_16
; %bb.27:                               ;   in Loop: Header=BB10_17 Depth=2
	s_add_i32 s33, s33, 1
	s_add_i32 s16, s16, s20
	s_cmp_eq_u32 s33, s21
	s_cselect_b64 s[58:59], -1, 0
	s_andn2_b64 s[60:61], s[60:61], exec
	s_andn2_b64 s[56:57], s[56:57], exec
	s_orn2_b64 s[58:59], s[58:59], exec
                                        ; implicit-def: $vgpr16
	s_branch .LBB10_16
.LBB10_28:                              ;   in Loop: Header=BB10_9 Depth=1
	s_or_b64 exec, exec, s[54:55]
	s_branch .LBB10_46
.LBB10_29:                              ;   in Loop: Header=BB10_9 Depth=1
	s_mov_b64 s[6:7], 0
	s_mov_b64 s[50:51], -1
	s_and_b64 vcc, exec, s[2:3]
	s_cbranch_vccnz .LBB10_31
	s_branch .LBB10_46
.LBB10_30:                              ;   in Loop: Header=BB10_9 Depth=1
	s_mov_b64 s[50:51], -1
	s_branch .LBB10_46
.LBB10_31:                              ;   in Loop: Header=BB10_9 Depth=1
	s_and_b64 vcc, exec, s[34:35]
	s_cbranch_vccz .LBB10_50
; %bb.32:                               ;   in Loop: Header=BB10_9 Depth=1
	s_mov_b32 s16, 0
	s_mov_b64 s[54:55], 0
	s_mov_b32 s33, s16
                                        ; implicit-def: $sgpr6_sgpr7
                                        ; implicit-def: $sgpr50_sgpr51
                                        ; implicit-def: $sgpr56_sgpr57
	s_branch .LBB10_34
.LBB10_33:                              ;   in Loop: Header=BB10_34 Depth=2
	s_or_b64 exec, exec, s[2:3]
	s_xor_b64 s[2:3], s[60:61], -1
	s_and_b64 s[58:59], exec, s[58:59]
	s_or_b64 s[54:55], s[58:59], s[54:55]
	s_andn2_b64 s[50:51], s[50:51], exec
	s_and_b64 s[58:59], s[56:57], exec
	s_andn2_b64 s[6:7], s[6:7], exec
	s_and_b64 s[2:3], s[2:3], exec
	s_or_b64 s[50:51], s[50:51], s[58:59]
	s_or_b64 s[6:7], s[6:7], s[2:3]
	s_andn2_b64 exec, exec, s[54:55]
	s_cbranch_execz .LBB10_45
.LBB10_34:                              ;   Parent Loop BB10_9 Depth=1
                                        ; =>  This Loop Header: Depth=2
                                        ;       Child Loop BB10_38 Depth 3
	s_andn2_b64 vcc, exec, s[30:31]
	s_mov_b64 s[58:59], -1
	s_cbranch_vccnz .LBB10_42
; %bb.35:                               ;   in Loop: Header=BB10_34 Depth=2
	s_lshl_b64 s[66:67], s[16:17], 3
	s_mov_b64 s[64:65], 0
	s_mov_b32 s80, s21
                                        ; implicit-def: $sgpr62_sgpr63
                                        ; implicit-def: $sgpr60_sgpr61
                                        ; implicit-def: $sgpr68_sgpr69
                                        ; implicit-def: $sgpr70_sgpr71
	s_branch .LBB10_38
.LBB10_36:                              ;   in Loop: Header=BB10_38 Depth=3
	s_or_b64 exec, exec, s[78:79]
	s_andn2_b64 s[70:71], s[70:71], exec
	s_and_b64 s[76:77], s[76:77], exec
	s_andn2_b64 s[68:69], s[68:69], exec
	s_and_b64 s[2:3], s[2:3], exec
	v_mov_b32_e32 v16, 2
	s_or_b64 s[70:71], s[70:71], s[76:77]
	s_or_b64 s[68:69], s[68:69], s[2:3]
.LBB10_37:                              ;   in Loop: Header=BB10_38 Depth=3
	s_or_b64 exec, exec, s[74:75]
	s_xor_b64 s[2:3], s[70:71], -1
	s_and_b64 s[74:75], exec, s[68:69]
	s_or_b64 s[64:65], s[74:75], s[64:65]
	s_andn2_b64 s[60:61], s[60:61], exec
	s_and_b64 s[72:73], s[72:73], exec
	s_andn2_b64 s[62:63], s[62:63], exec
	s_and_b64 s[2:3], s[2:3], exec
	s_or_b64 s[60:61], s[60:61], s[72:73]
	s_or_b64 s[62:63], s[62:63], s[2:3]
	s_andn2_b64 exec, exec, s[64:65]
	s_cbranch_execz .LBB10_41
.LBB10_38:                              ;   Parent Loop BB10_9 Depth=1
                                        ;     Parent Loop BB10_34 Depth=2
                                        ; =>    This Inner Loop Header: Depth=3
	v_mov_b32_e32 v13, s67
	v_add_co_u32_e32 v12, vcc, s66, v0
	v_addc_co_u32_e32 v13, vcc, v1, v13, vcc
	global_load_dwordx2 v[12:13], v[12:13], off
	s_mov_b64 s[72:73], -1
	v_mov_b32_e32 v16, 1
	s_or_b64 s[70:71], s[70:71], exec
	s_or_b64 s[68:69], s[68:69], exec
	s_waitcnt vmcnt(0)
	v_cmp_neq_f32_e32 vcc, s9, v12
	v_cmp_neq_f32_e64 s[2:3], s9, v13
	s_and_b64 s[2:3], vcc, s[2:3]
	s_and_saveexec_b64 s[74:75], s[2:3]
	s_xor_b64 s[74:75], exec, s[74:75]
	s_cbranch_execz .LBB10_37
; %bb.39:                               ;   in Loop: Header=BB10_38 Depth=3
	v_cmp_o_f32_e32 vcc, v12, v12
	v_cmp_o_f32_e64 s[2:3], v13, v13
	s_and_b64 s[82:83], vcc, s[2:3]
	s_mov_b64 s[2:3], -1
	s_mov_b64 s[76:77], -1
	s_and_saveexec_b64 s[78:79], s[82:83]
	s_cbranch_execz .LBB10_36
; %bb.40:                               ;   in Loop: Header=BB10_38 Depth=3
	s_add_i32 s80, s80, -1
	s_add_u32 s66, s66, 8
	s_addc_u32 s67, s67, 0
	s_cmp_eq_u32 s80, 0
	s_cselect_b64 s[2:3], -1, 0
	s_xor_b64 s[76:77], exec, -1
	s_orn2_b64 s[2:3], s[2:3], exec
	s_branch .LBB10_36
.LBB10_41:                              ;   in Loop: Header=BB10_34 Depth=2
	s_or_b64 exec, exec, s[64:65]
	s_branch .LBB10_43
.LBB10_42:                              ;   in Loop: Header=BB10_34 Depth=2
	s_mov_b64 s[62:63], -1
                                        ; implicit-def: $sgpr60_sgpr61
                                        ; implicit-def: $vgpr16
.LBB10_43:                              ;   in Loop: Header=BB10_34 Depth=2
	s_andn2_b64 s[2:3], s[56:57], exec
	s_and_b64 s[56:57], s[60:61], exec
	s_or_b64 s[56:57], s[2:3], s[56:57]
	s_and_saveexec_b64 s[2:3], s[62:63]
	s_cbranch_execz .LBB10_33
; %bb.44:                               ;   in Loop: Header=BB10_34 Depth=2
	s_add_i32 s33, s33, 1
	s_add_i32 s16, s16, s21
	s_cmp_eq_u32 s33, s20
	s_cselect_b64 s[58:59], -1, 0
	s_andn2_b64 s[60:61], s[60:61], exec
	s_andn2_b64 s[56:57], s[56:57], exec
	s_orn2_b64 s[58:59], s[58:59], exec
                                        ; implicit-def: $vgpr16
	s_branch .LBB10_33
.LBB10_45:                              ;   in Loop: Header=BB10_9 Depth=1
	s_or_b64 exec, exec, s[54:55]
.LBB10_46:                              ;   in Loop: Header=BB10_9 Depth=1
	s_mov_b64 s[2:3], -1
	s_and_saveexec_b64 s[54:55], s[6:7]
	s_cbranch_execz .LBB10_6
.LBB10_47:                              ;   in Loop: Header=BB10_9 Depth=1
	s_and_b64 vcc, exec, s[36:37]
	s_cbranch_vccz .LBB10_51
; %bb.48:                               ;   in Loop: Header=BB10_9 Depth=1
	s_and_b64 vcc, exec, s[38:39]
	s_cbranch_vccz .LBB10_52
; %bb.49:                               ;   in Loop: Header=BB10_9 Depth=1
	v_cmp_le_u32_e32 vcc, v4, v15
	v_mov_b32_e32 v16, 7
	s_or_b64 s[56:57], s[50:51], exec
	s_and_b64 s[6:7], vcc, exec
	s_cbranch_execz .LBB10_53
	s_branch .LBB10_54
.LBB10_50:                              ;   in Loop: Header=BB10_9 Depth=1
	s_mov_b64 s[6:7], -1
	s_mov_b64 s[2:3], -1
	s_and_saveexec_b64 s[54:55], s[6:7]
	s_cbranch_execz .LBB10_6
	s_branch .LBB10_47
.LBB10_51:                              ;   in Loop: Header=BB10_9 Depth=1
	s_mov_b64 s[6:7], -1
	s_mov_b64 s[56:57], s[50:51]
	s_branch .LBB10_54
.LBB10_52:                              ;   in Loop: Header=BB10_9 Depth=1
	s_mov_b64 s[6:7], 0
	s_mov_b64 s[56:57], s[50:51]
.LBB10_53:                              ;   in Loop: Header=BB10_9 Depth=1
	v_cmp_ge_u32_e32 vcc, v4, v15
	s_andn2_b64 s[6:7], s[6:7], exec
	s_and_b64 s[58:59], vcc, exec
	v_mov_b32_e32 v16, 7
	s_or_b64 s[56:57], s[56:57], exec
	s_or_b64 s[6:7], s[6:7], s[58:59]
.LBB10_54:                              ;   in Loop: Header=BB10_9 Depth=1
	s_and_saveexec_b64 s[58:59], s[6:7]
	s_cbranch_execz .LBB10_5
; %bb.55:                               ;   in Loop: Header=BB10_9 Depth=1
	s_or_b64 s[60:61], s[14:15], s[52:53]
	s_xor_b64 s[2:3], s[60:61], -1
	s_mov_b64 s[52:53], s[56:57]
	s_and_saveexec_b64 s[62:63], s[2:3]
	s_cbranch_execz .LBB10_57
; %bb.56:                               ;   in Loop: Header=BB10_9 Depth=1
	global_load_dword v10, v[10:11], off offset:-4
	v_mov_b32_e32 v16, 6
	s_or_b64 s[52:53], s[56:57], exec
	s_waitcnt vmcnt(0)
	v_subrev_u32_e32 v11, s12, v10
	v_cmp_lt_i32_e64 s[2:3], -1, v11
	v_cmp_gt_i32_e64 s[6:7], s18, v11
	s_and_b64 s[2:3], s[2:3], s[6:7]
	v_cmp_gt_i32_e32 vcc, v14, v10
	s_xor_b64 s[2:3], s[2:3], -1
	s_or_b64 s[2:3], vcc, s[2:3]
	s_andn2_b64 s[6:7], s[60:61], exec
	s_and_b64 s[2:3], s[2:3], exec
	s_or_b64 s[60:61], s[6:7], s[2:3]
.LBB10_57:                              ;   in Loop: Header=BB10_9 Depth=1
	s_or_b64 exec, exec, s[62:63]
	s_mov_b64 s[2:3], -1
	s_and_saveexec_b64 s[6:7], s[60:61]
	s_cbranch_execz .LBB10_4
; %bb.58:                               ;   in Loop: Header=BB10_9 Depth=1
	v_add_co_u32_e32 v2, vcc, 1, v2
	v_addc_co_u32_e32 v3, vcc, 0, v3, vcc
	v_mov_b32_e32 v10, s23
	v_add_co_u32_e32 v0, vcc, s22, v0
	v_addc_co_u32_e32 v1, vcc, v1, v10, vcc
	v_cmp_ge_i64_e32 vcc, v[2:3], v[8:9]
	s_andn2_b64 s[52:53], s[52:53], exec
	s_orn2_b64 s[2:3], vcc, exec
                                        ; implicit-def: $vgpr16
	s_branch .LBB10_4
.LBB10_59:
	s_or_b64 exec, exec, s[10:11]
	s_and_b64 s[6:7], s[40:41], exec
.LBB10_60:
	s_or_b64 exec, exec, s[26:27]
	s_orn2_b64 s[8:9], s[6:7], exec
.LBB10_61:
	s_or_b64 exec, exec, s[24:25]
	s_and_b64 exec, exec, s[8:9]
	s_cbranch_execz .LBB10_63
; %bb.62:
	s_load_dwordx2 s[0:1], s[4:5], 0x50
	v_mov_b32_e32 v0, 0
	s_waitcnt lgkmcnt(0)
	global_store_dword v0, v16, s[0:1]
.LBB10_63:
	s_endpgm
	.section	.rodata,"a",@progbits
	.p2align	6, 0x0
	.amdhsa_kernel _ZN9rocsparseL25check_matrix_gebsr_deviceILj256E21rocsparse_complex_numIfEliEEv20rocsparse_direction_T2_S4_T1_S4_S4_PKT0_PKS5_PKS4_SC_21rocsparse_index_base_22rocsparse_matrix_type_20rocsparse_fill_mode_23rocsparse_storage_mode_P22rocsparse_data_status_
		.amdhsa_group_segment_fixed_size 0
		.amdhsa_private_segment_fixed_size 0
		.amdhsa_kernarg_size 88
		.amdhsa_user_sgpr_count 6
		.amdhsa_user_sgpr_private_segment_buffer 1
		.amdhsa_user_sgpr_dispatch_ptr 0
		.amdhsa_user_sgpr_queue_ptr 0
		.amdhsa_user_sgpr_kernarg_segment_ptr 1
		.amdhsa_user_sgpr_dispatch_id 0
		.amdhsa_user_sgpr_flat_scratch_init 0
		.amdhsa_user_sgpr_kernarg_preload_length 0
		.amdhsa_user_sgpr_kernarg_preload_offset 0
		.amdhsa_user_sgpr_private_segment_size 0
		.amdhsa_uses_dynamic_stack 0
		.amdhsa_system_sgpr_private_segment_wavefront_offset 0
		.amdhsa_system_sgpr_workgroup_id_x 1
		.amdhsa_system_sgpr_workgroup_id_y 0
		.amdhsa_system_sgpr_workgroup_id_z 0
		.amdhsa_system_sgpr_workgroup_info 0
		.amdhsa_system_vgpr_workitem_id 0
		.amdhsa_next_free_vgpr 18
		.amdhsa_next_free_sgpr 84
		.amdhsa_accum_offset 20
		.amdhsa_reserve_vcc 1
		.amdhsa_reserve_flat_scratch 0
		.amdhsa_float_round_mode_32 0
		.amdhsa_float_round_mode_16_64 0
		.amdhsa_float_denorm_mode_32 3
		.amdhsa_float_denorm_mode_16_64 3
		.amdhsa_dx10_clamp 1
		.amdhsa_ieee_mode 1
		.amdhsa_fp16_overflow 0
		.amdhsa_tg_split 0
		.amdhsa_exception_fp_ieee_invalid_op 0
		.amdhsa_exception_fp_denorm_src 0
		.amdhsa_exception_fp_ieee_div_zero 0
		.amdhsa_exception_fp_ieee_overflow 0
		.amdhsa_exception_fp_ieee_underflow 0
		.amdhsa_exception_fp_ieee_inexact 0
		.amdhsa_exception_int_div_zero 0
	.end_amdhsa_kernel
	.section	.text._ZN9rocsparseL25check_matrix_gebsr_deviceILj256E21rocsparse_complex_numIfEliEEv20rocsparse_direction_T2_S4_T1_S4_S4_PKT0_PKS5_PKS4_SC_21rocsparse_index_base_22rocsparse_matrix_type_20rocsparse_fill_mode_23rocsparse_storage_mode_P22rocsparse_data_status_,"axG",@progbits,_ZN9rocsparseL25check_matrix_gebsr_deviceILj256E21rocsparse_complex_numIfEliEEv20rocsparse_direction_T2_S4_T1_S4_S4_PKT0_PKS5_PKS4_SC_21rocsparse_index_base_22rocsparse_matrix_type_20rocsparse_fill_mode_23rocsparse_storage_mode_P22rocsparse_data_status_,comdat
.Lfunc_end10:
	.size	_ZN9rocsparseL25check_matrix_gebsr_deviceILj256E21rocsparse_complex_numIfEliEEv20rocsparse_direction_T2_S4_T1_S4_S4_PKT0_PKS5_PKS4_SC_21rocsparse_index_base_22rocsparse_matrix_type_20rocsparse_fill_mode_23rocsparse_storage_mode_P22rocsparse_data_status_, .Lfunc_end10-_ZN9rocsparseL25check_matrix_gebsr_deviceILj256E21rocsparse_complex_numIfEliEEv20rocsparse_direction_T2_S4_T1_S4_S4_PKT0_PKS5_PKS4_SC_21rocsparse_index_base_22rocsparse_matrix_type_20rocsparse_fill_mode_23rocsparse_storage_mode_P22rocsparse_data_status_
                                        ; -- End function
	.section	.AMDGPU.csdata,"",@progbits
; Kernel info:
; codeLenInByte = 1800
; NumSgprs: 88
; NumVgprs: 18
; NumAgprs: 0
; TotalNumVgprs: 18
; ScratchSize: 0
; MemoryBound: 0
; FloatMode: 240
; IeeeMode: 1
; LDSByteSize: 0 bytes/workgroup (compile time only)
; SGPRBlocks: 10
; VGPRBlocks: 2
; NumSGPRsForWavesPerEU: 88
; NumVGPRsForWavesPerEU: 18
; AccumOffset: 20
; Occupancy: 8
; WaveLimiterHint : 0
; COMPUTE_PGM_RSRC2:SCRATCH_EN: 0
; COMPUTE_PGM_RSRC2:USER_SGPR: 6
; COMPUTE_PGM_RSRC2:TRAP_HANDLER: 0
; COMPUTE_PGM_RSRC2:TGID_X_EN: 1
; COMPUTE_PGM_RSRC2:TGID_Y_EN: 0
; COMPUTE_PGM_RSRC2:TGID_Z_EN: 0
; COMPUTE_PGM_RSRC2:TIDIG_COMP_CNT: 0
; COMPUTE_PGM_RSRC3_GFX90A:ACCUM_OFFSET: 4
; COMPUTE_PGM_RSRC3_GFX90A:TG_SPLIT: 0
	.section	.text._ZN9rocsparseL25check_matrix_gebsr_deviceILj256E21rocsparse_complex_numIdEliEEv20rocsparse_direction_T2_S4_T1_S4_S4_PKT0_PKS5_PKS4_SC_21rocsparse_index_base_22rocsparse_matrix_type_20rocsparse_fill_mode_23rocsparse_storage_mode_P22rocsparse_data_status_,"axG",@progbits,_ZN9rocsparseL25check_matrix_gebsr_deviceILj256E21rocsparse_complex_numIdEliEEv20rocsparse_direction_T2_S4_T1_S4_S4_PKT0_PKS5_PKS4_SC_21rocsparse_index_base_22rocsparse_matrix_type_20rocsparse_fill_mode_23rocsparse_storage_mode_P22rocsparse_data_status_,comdat
	.globl	_ZN9rocsparseL25check_matrix_gebsr_deviceILj256E21rocsparse_complex_numIdEliEEv20rocsparse_direction_T2_S4_T1_S4_S4_PKT0_PKS5_PKS4_SC_21rocsparse_index_base_22rocsparse_matrix_type_20rocsparse_fill_mode_23rocsparse_storage_mode_P22rocsparse_data_status_ ; -- Begin function _ZN9rocsparseL25check_matrix_gebsr_deviceILj256E21rocsparse_complex_numIdEliEEv20rocsparse_direction_T2_S4_T1_S4_S4_PKT0_PKS5_PKS4_SC_21rocsparse_index_base_22rocsparse_matrix_type_20rocsparse_fill_mode_23rocsparse_storage_mode_P22rocsparse_data_status_
	.p2align	8
	.type	_ZN9rocsparseL25check_matrix_gebsr_deviceILj256E21rocsparse_complex_numIdEliEEv20rocsparse_direction_T2_S4_T1_S4_S4_PKT0_PKS5_PKS4_SC_21rocsparse_index_base_22rocsparse_matrix_type_20rocsparse_fill_mode_23rocsparse_storage_mode_P22rocsparse_data_status_,@function
_ZN9rocsparseL25check_matrix_gebsr_deviceILj256E21rocsparse_complex_numIdEliEEv20rocsparse_direction_T2_S4_T1_S4_S4_PKT0_PKS5_PKS4_SC_21rocsparse_index_base_22rocsparse_matrix_type_20rocsparse_fill_mode_23rocsparse_storage_mode_P22rocsparse_data_status_: ; @_ZN9rocsparseL25check_matrix_gebsr_deviceILj256E21rocsparse_complex_numIdEliEEv20rocsparse_direction_T2_S4_T1_S4_S4_PKT0_PKS5_PKS4_SC_21rocsparse_index_base_22rocsparse_matrix_type_20rocsparse_fill_mode_23rocsparse_storage_mode_P22rocsparse_data_status_
; %bb.0:
	s_load_dwordx4 s[16:19], s[4:5], 0x0
	v_mov_b32_e32 v5, 0
	v_lshl_or_b32 v4, s6, 8, v0
	s_waitcnt lgkmcnt(0)
	s_ashr_i32 s1, s17, 31
	s_mov_b32 s0, s17
	v_cmp_gt_i64_e32 vcc, s[0:1], v[4:5]
	s_and_saveexec_b64 s[0:1], vcc
	s_cbranch_execz .LBB11_63
; %bb.1:
	s_load_dwordx2 s[0:1], s[4:5], 0x28
	v_lshlrev_b64 v[0:1], 3, v[4:5]
	s_mov_b64 s[8:9], -1
	s_mov_b64 s[6:7], 0
	v_mov_b32_e32 v18, 3
	s_waitcnt lgkmcnt(0)
	v_mov_b32_e32 v2, s1
	v_add_co_u32_e32 v0, vcc, s0, v0
	v_addc_co_u32_e32 v1, vcc, v2, v1, vcc
	global_load_dwordx4 v[0:3], v[0:1], off
	s_load_dwordx2 s[0:1], s[0:1], 0x0
	s_waitcnt lgkmcnt(0)
	v_mov_b32_e32 v5, s1
	s_waitcnt vmcnt(0)
	v_subrev_co_u32_e32 v6, vcc, s0, v0
	v_subb_co_u32_e32 v7, vcc, v1, v5, vcc
	v_subrev_co_u32_e32 v8, vcc, s0, v2
	v_subb_co_u32_e32 v9, vcc, v3, v5, vcc
	v_cmp_lt_i64_e32 vcc, v[2:3], v[0:1]
	v_cmp_gt_i64_e64 s[2:3], 0, v[8:9]
	s_or_b64 s[2:3], s[2:3], vcc
	v_cmp_lt_i64_e64 s[0:1], -1, v[6:7]
	s_xor_b64 s[2:3], s[2:3], -1
	s_and_b64 s[0:1], s[0:1], s[2:3]
	s_and_saveexec_b64 s[24:25], s[0:1]
	s_cbranch_execz .LBB11_61
; %bb.2:
	v_cmp_lt_i64_e32 vcc, v[0:1], v[2:3]
	v_mov_b32_e32 v18, 3
	s_and_saveexec_b64 s[26:27], vcc
	s_cbranch_execz .LBB11_60
; %bb.3:
	s_load_dwordx4 s[20:23], s[4:5], 0x18
	s_load_dwordx8 s[8:15], s[4:5], 0x30
	s_cmp_lg_u32 s16, 0
	s_cselect_b64 s[28:29], -1, 0
	s_mov_b32 s40, 0
	s_waitcnt lgkmcnt(0)
	s_cmp_gt_i32 s21, 0
	s_cselect_b64 s[30:31], -1, 0
	s_cmp_gt_i32 s20, 0
	s_mul_hi_i32 s1, s21, s20
	s_mul_i32 s0, s21, s20
	s_cselect_b64 s[34:35], -1, 0
	s_cmp_lg_u32 s13, 0
	v_mul_lo_u32 v2, s1, v6
	v_mul_lo_u32 v3, s0, v7
	v_mad_u64_u32 v[0:1], s[2:3], s0, v6, 0
	s_cselect_b64 s[36:37], -1, 0
	s_cmp_lg_u32 s14, 0
	v_add3_u32 v1, v1, v3, v2
	s_cselect_b64 s[38:39], -1, 0
	s_cmp_lg_u32 s15, 0
	v_lshlrev_b64 v[0:1], 4, v[0:1]
	s_cselect_b64 s[14:15], -1, 0
	s_add_u32 s13, s10, -4
	v_mov_b32_e32 v2, s23
	v_add_co_u32_e32 v10, vcc, s22, v0
	v_cndmask_b32_e64 v0, 0, 1, s[34:35]
	s_mov_b32 s17, 0
	s_addc_u32 s19, s11, -1
	v_addc_co_u32_e32 v5, vcc, v2, v1, vcc
	s_lshl_b64 s[22:23], s[0:1], 4
	s_mov_b64 s[10:11], 0
	v_mov_b32_e32 v11, s9
	s_mov_b32 s41, 0x7ff00000
	v_cmp_ne_u32_e64 s[0:1], 1, v0
	v_pk_mov_b32 v[12:13], v[6:7], v[6:7] op_sel:[0,1]
                                        ; implicit-def: $sgpr42_sgpr43
                                        ; implicit-def: $sgpr44_sgpr45
                                        ; implicit-def: $sgpr46_sgpr47
	s_branch .LBB11_9
.LBB11_4:                               ;   in Loop: Header=BB11_9 Depth=1
	s_or_b64 exec, exec, s[6:7]
	s_andn2_b64 s[6:7], s[58:59], exec
	s_and_b64 s[54:55], s[54:55], exec
	s_or_b64 s[58:59], s[6:7], s[54:55]
	s_orn2_b64 s[2:3], s[2:3], exec
.LBB11_5:                               ;   in Loop: Header=BB11_9 Depth=1
	s_or_b64 exec, exec, s[60:61]
	s_andn2_b64 s[6:7], s[52:53], exec
	s_and_b64 s[52:53], s[58:59], exec
	s_or_b64 s[52:53], s[6:7], s[52:53]
	s_orn2_b64 s[2:3], s[2:3], exec
.LBB11_6:                               ;   in Loop: Header=BB11_9 Depth=1
	s_or_b64 exec, exec, s[56:57]
	s_orn2_b64 s[6:7], s[52:53], exec
	s_orn2_b64 s[2:3], s[2:3], exec
.LBB11_7:                               ;   in Loop: Header=BB11_9 Depth=1
	s_or_b64 exec, exec, s[50:51]
	s_andn2_b64 s[46:47], s[46:47], exec
	s_and_b64 s[6:7], s[6:7], exec
	s_or_b64 s[46:47], s[46:47], s[6:7]
	s_andn2_b64 s[6:7], s[44:45], exec
	s_and_b64 s[2:3], s[2:3], exec
	s_or_b64 s[44:45], s[6:7], s[2:3]
.LBB11_8:                               ;   in Loop: Header=BB11_9 Depth=1
	s_or_b64 exec, exec, s[48:49]
	s_and_b64 s[2:3], exec, s[44:45]
	s_or_b64 s[10:11], s[2:3], s[10:11]
	s_andn2_b64 s[2:3], s[42:43], exec
	s_and_b64 s[6:7], s[46:47], exec
	s_or_b64 s[42:43], s[2:3], s[6:7]
	s_andn2_b64 exec, exec, s[10:11]
	s_cbranch_execz .LBB11_59
.LBB11_9:                               ; =>This Loop Header: Depth=1
                                        ;     Child Loop BB11_34 Depth 2
                                        ;       Child Loop BB11_38 Depth 3
                                        ;     Child Loop BB11_17 Depth 2
                                        ;       Child Loop BB11_21 Depth 3
	v_lshlrev_b64 v[0:1], 2, v[12:13]
	v_add_co_u32_e32 v14, vcc, s8, v0
	v_addc_co_u32_e32 v15, vcc, v11, v1, vcc
	global_load_dword v16, v[14:15], off
	v_mov_b32_e32 v18, 4
	s_or_b64 s[46:47], s[46:47], exec
	s_or_b64 s[44:45], s[44:45], exec
	s_waitcnt vmcnt(0)
	v_subrev_u32_e32 v17, s12, v16
	v_cmp_lt_i32_e32 vcc, -1, v17
	v_cmp_gt_i32_e64 s[2:3], s18, v17
	s_and_b64 s[2:3], vcc, s[2:3]
	s_and_saveexec_b64 s[48:49], s[2:3]
	s_cbranch_execz .LBB11_8
; %bb.10:                               ;   in Loop: Header=BB11_9 Depth=1
	v_cmp_le_i64_e64 s[54:55], v[12:13], v[6:7]
	v_cmp_gt_i64_e32 vcc, v[12:13], v[6:7]
	v_mov_b32_e32 v18, 4
	s_mov_b64 s[52:53], s[54:55]
	s_and_saveexec_b64 s[50:51], vcc
	s_cbranch_execz .LBB11_12
; %bb.11:                               ;   in Loop: Header=BB11_9 Depth=1
	v_mov_b32_e32 v2, s19
	v_add_co_u32_e32 v0, vcc, s13, v0
	v_addc_co_u32_e32 v1, vcc, v2, v1, vcc
	global_load_dwordx2 v[0:1], v[0:1], off
	v_mov_b32_e32 v18, 5
	s_waitcnt vmcnt(0)
	v_subrev_u32_e32 v2, s12, v0
	v_cmp_lt_i32_e64 s[2:3], -1, v2
	v_cmp_gt_i32_e64 s[6:7], s18, v2
	s_and_b64 s[2:3], s[2:3], s[6:7]
	v_cmp_ne_u32_e32 vcc, v1, v0
	s_xor_b64 s[2:3], s[2:3], -1
	s_or_b64 s[2:3], vcc, s[2:3]
	s_andn2_b64 s[6:7], s[54:55], exec
	s_and_b64 s[2:3], s[2:3], exec
	s_or_b64 s[52:53], s[6:7], s[2:3]
.LBB11_12:                              ;   in Loop: Header=BB11_9 Depth=1
	s_or_b64 exec, exec, s[50:51]
	s_mov_b64 s[2:3], -1
	s_mov_b64 s[6:7], -1
	s_and_saveexec_b64 s[50:51], s[52:53]
	s_cbranch_execz .LBB11_7
; %bb.13:                               ;   in Loop: Header=BB11_9 Depth=1
	s_and_b64 vcc, exec, s[28:29]
	s_cbranch_vccz .LBB11_29
; %bb.14:                               ;   in Loop: Header=BB11_9 Depth=1
	s_and_b64 vcc, exec, s[30:31]
	s_cbranch_vccz .LBB11_30
; %bb.15:                               ;   in Loop: Header=BB11_9 Depth=1
	s_mov_b32 s16, 0
	s_mov_b64 s[56:57], 0
	s_mov_b32 s9, s16
                                        ; implicit-def: $sgpr6_sgpr7
                                        ; implicit-def: $sgpr52_sgpr53
                                        ; implicit-def: $sgpr58_sgpr59
	s_branch .LBB11_17
.LBB11_16:                              ;   in Loop: Header=BB11_17 Depth=2
	s_or_b64 exec, exec, s[2:3]
	s_xor_b64 s[2:3], s[62:63], -1
	s_and_b64 s[60:61], exec, s[60:61]
	s_or_b64 s[56:57], s[60:61], s[56:57]
	s_andn2_b64 s[52:53], s[52:53], exec
	s_and_b64 s[60:61], s[58:59], exec
	s_andn2_b64 s[6:7], s[6:7], exec
	s_and_b64 s[2:3], s[2:3], exec
	s_or_b64 s[52:53], s[52:53], s[60:61]
	s_or_b64 s[6:7], s[6:7], s[2:3]
	s_andn2_b64 exec, exec, s[56:57]
	s_cbranch_execz .LBB11_28
.LBB11_17:                              ;   Parent Loop BB11_9 Depth=1
                                        ; =>  This Loop Header: Depth=2
                                        ;       Child Loop BB11_21 Depth 3
	s_and_b64 vcc, exec, s[0:1]
	s_mov_b64 s[60:61], -1
	s_cbranch_vccnz .LBB11_25
; %bb.18:                               ;   in Loop: Header=BB11_17 Depth=2
	s_lshl_b64 s[68:69], s[16:17], 4
	s_mov_b64 s[66:67], 0
	s_mov_b32 s33, s20
                                        ; implicit-def: $sgpr64_sgpr65
                                        ; implicit-def: $sgpr62_sgpr63
                                        ; implicit-def: $sgpr70_sgpr71
                                        ; implicit-def: $sgpr72_sgpr73
	s_branch .LBB11_21
.LBB11_19:                              ;   in Loop: Header=BB11_21 Depth=3
	s_or_b64 exec, exec, s[80:81]
	s_andn2_b64 s[72:73], s[72:73], exec
	s_and_b64 s[78:79], s[78:79], exec
	s_andn2_b64 s[70:71], s[70:71], exec
	s_and_b64 s[2:3], s[2:3], exec
	v_mov_b32_e32 v18, 2
	s_or_b64 s[72:73], s[72:73], s[78:79]
	s_or_b64 s[70:71], s[70:71], s[2:3]
.LBB11_20:                              ;   in Loop: Header=BB11_21 Depth=3
	s_or_b64 exec, exec, s[76:77]
	s_xor_b64 s[2:3], s[72:73], -1
	s_and_b64 s[76:77], exec, s[70:71]
	s_or_b64 s[66:67], s[76:77], s[66:67]
	s_andn2_b64 s[62:63], s[62:63], exec
	s_and_b64 s[74:75], s[74:75], exec
	s_andn2_b64 s[64:65], s[64:65], exec
	s_and_b64 s[2:3], s[2:3], exec
	s_or_b64 s[62:63], s[62:63], s[74:75]
	s_or_b64 s[64:65], s[64:65], s[2:3]
	s_andn2_b64 exec, exec, s[66:67]
	s_cbranch_execz .LBB11_24
.LBB11_21:                              ;   Parent Loop BB11_9 Depth=1
                                        ;     Parent Loop BB11_17 Depth=2
                                        ; =>    This Inner Loop Header: Depth=3
	v_mov_b32_e32 v1, s69
	v_add_co_u32_e32 v0, vcc, s68, v10
	v_addc_co_u32_e32 v1, vcc, v5, v1, vcc
	global_load_dwordx4 v[0:3], v[0:1], off
	s_mov_b64 s[74:75], -1
	v_mov_b32_e32 v18, 1
	s_or_b64 s[72:73], s[72:73], exec
	s_or_b64 s[70:71], s[70:71], exec
	s_waitcnt vmcnt(0)
	v_cmp_neq_f64_e32 vcc, s[40:41], v[0:1]
	v_cmp_neq_f64_e64 s[2:3], s[40:41], v[2:3]
	s_and_b64 s[2:3], vcc, s[2:3]
	s_and_saveexec_b64 s[76:77], s[2:3]
	s_xor_b64 s[76:77], exec, s[76:77]
	s_cbranch_execz .LBB11_20
; %bb.22:                               ;   in Loop: Header=BB11_21 Depth=3
	v_cmp_o_f64_e32 vcc, v[0:1], v[0:1]
	v_cmp_o_f64_e64 s[2:3], v[2:3], v[2:3]
	s_and_b64 s[82:83], vcc, s[2:3]
	s_mov_b64 s[2:3], -1
	s_mov_b64 s[78:79], -1
	s_and_saveexec_b64 s[80:81], s[82:83]
	s_cbranch_execz .LBB11_19
; %bb.23:                               ;   in Loop: Header=BB11_21 Depth=3
	s_add_i32 s33, s33, -1
	s_add_u32 s68, s68, 16
	s_addc_u32 s69, s69, 0
	s_cmp_eq_u32 s33, 0
	s_cselect_b64 s[2:3], -1, 0
	s_xor_b64 s[78:79], exec, -1
	s_orn2_b64 s[2:3], s[2:3], exec
	s_branch .LBB11_19
.LBB11_24:                              ;   in Loop: Header=BB11_17 Depth=2
	s_or_b64 exec, exec, s[66:67]
	s_branch .LBB11_26
.LBB11_25:                              ;   in Loop: Header=BB11_17 Depth=2
	s_mov_b64 s[64:65], -1
                                        ; implicit-def: $sgpr62_sgpr63
                                        ; implicit-def: $vgpr18
.LBB11_26:                              ;   in Loop: Header=BB11_17 Depth=2
	s_andn2_b64 s[2:3], s[58:59], exec
	s_and_b64 s[58:59], s[62:63], exec
	s_or_b64 s[58:59], s[2:3], s[58:59]
	s_and_saveexec_b64 s[2:3], s[64:65]
	s_cbranch_execz .LBB11_16
; %bb.27:                               ;   in Loop: Header=BB11_17 Depth=2
	s_add_i32 s9, s9, 1
	s_add_i32 s16, s16, s20
	s_cmp_eq_u32 s9, s21
	s_cselect_b64 s[60:61], -1, 0
	s_andn2_b64 s[62:63], s[62:63], exec
	s_andn2_b64 s[58:59], s[58:59], exec
	s_orn2_b64 s[60:61], s[60:61], exec
                                        ; implicit-def: $vgpr18
	s_branch .LBB11_16
.LBB11_28:                              ;   in Loop: Header=BB11_9 Depth=1
	s_or_b64 exec, exec, s[56:57]
	s_branch .LBB11_46
.LBB11_29:                              ;   in Loop: Header=BB11_9 Depth=1
	s_mov_b64 s[6:7], 0
	s_mov_b64 s[52:53], -1
	s_and_b64 vcc, exec, s[2:3]
	s_cbranch_vccnz .LBB11_31
	s_branch .LBB11_46
.LBB11_30:                              ;   in Loop: Header=BB11_9 Depth=1
	s_mov_b64 s[52:53], -1
	s_branch .LBB11_46
.LBB11_31:                              ;   in Loop: Header=BB11_9 Depth=1
	s_and_b64 vcc, exec, s[34:35]
	s_cbranch_vccz .LBB11_50
; %bb.32:                               ;   in Loop: Header=BB11_9 Depth=1
	s_mov_b32 s16, 0
	s_mov_b64 s[56:57], 0
	s_mov_b32 s9, s16
                                        ; implicit-def: $sgpr6_sgpr7
                                        ; implicit-def: $sgpr52_sgpr53
                                        ; implicit-def: $sgpr58_sgpr59
	s_branch .LBB11_34
.LBB11_33:                              ;   in Loop: Header=BB11_34 Depth=2
	s_or_b64 exec, exec, s[2:3]
	s_xor_b64 s[2:3], s[62:63], -1
	s_and_b64 s[60:61], exec, s[60:61]
	s_or_b64 s[56:57], s[60:61], s[56:57]
	s_andn2_b64 s[52:53], s[52:53], exec
	s_and_b64 s[60:61], s[58:59], exec
	s_andn2_b64 s[6:7], s[6:7], exec
	s_and_b64 s[2:3], s[2:3], exec
	s_or_b64 s[52:53], s[52:53], s[60:61]
	s_or_b64 s[6:7], s[6:7], s[2:3]
	s_andn2_b64 exec, exec, s[56:57]
	s_cbranch_execz .LBB11_45
.LBB11_34:                              ;   Parent Loop BB11_9 Depth=1
                                        ; =>  This Loop Header: Depth=2
                                        ;       Child Loop BB11_38 Depth 3
	s_andn2_b64 vcc, exec, s[30:31]
	s_mov_b64 s[60:61], -1
	s_cbranch_vccnz .LBB11_42
; %bb.35:                               ;   in Loop: Header=BB11_34 Depth=2
	s_lshl_b64 s[68:69], s[16:17], 4
	s_mov_b64 s[66:67], 0
	s_mov_b32 s33, s21
                                        ; implicit-def: $sgpr64_sgpr65
                                        ; implicit-def: $sgpr62_sgpr63
                                        ; implicit-def: $sgpr70_sgpr71
                                        ; implicit-def: $sgpr72_sgpr73
	s_branch .LBB11_38
.LBB11_36:                              ;   in Loop: Header=BB11_38 Depth=3
	s_or_b64 exec, exec, s[80:81]
	s_andn2_b64 s[72:73], s[72:73], exec
	s_and_b64 s[78:79], s[78:79], exec
	s_andn2_b64 s[70:71], s[70:71], exec
	s_and_b64 s[2:3], s[2:3], exec
	v_mov_b32_e32 v18, 2
	s_or_b64 s[72:73], s[72:73], s[78:79]
	s_or_b64 s[70:71], s[70:71], s[2:3]
.LBB11_37:                              ;   in Loop: Header=BB11_38 Depth=3
	s_or_b64 exec, exec, s[76:77]
	s_xor_b64 s[2:3], s[72:73], -1
	s_and_b64 s[76:77], exec, s[70:71]
	s_or_b64 s[66:67], s[76:77], s[66:67]
	s_andn2_b64 s[62:63], s[62:63], exec
	s_and_b64 s[74:75], s[74:75], exec
	s_andn2_b64 s[64:65], s[64:65], exec
	s_and_b64 s[2:3], s[2:3], exec
	s_or_b64 s[62:63], s[62:63], s[74:75]
	s_or_b64 s[64:65], s[64:65], s[2:3]
	s_andn2_b64 exec, exec, s[66:67]
	s_cbranch_execz .LBB11_41
.LBB11_38:                              ;   Parent Loop BB11_9 Depth=1
                                        ;     Parent Loop BB11_34 Depth=2
                                        ; =>    This Inner Loop Header: Depth=3
	v_mov_b32_e32 v1, s69
	v_add_co_u32_e32 v0, vcc, s68, v10
	v_addc_co_u32_e32 v1, vcc, v5, v1, vcc
	global_load_dwordx4 v[0:3], v[0:1], off
	s_mov_b64 s[74:75], -1
	v_mov_b32_e32 v18, 1
	s_or_b64 s[72:73], s[72:73], exec
	s_or_b64 s[70:71], s[70:71], exec
	s_waitcnt vmcnt(0)
	v_cmp_neq_f64_e32 vcc, s[40:41], v[0:1]
	v_cmp_neq_f64_e64 s[2:3], s[40:41], v[2:3]
	s_and_b64 s[2:3], vcc, s[2:3]
	s_and_saveexec_b64 s[76:77], s[2:3]
	s_xor_b64 s[76:77], exec, s[76:77]
	s_cbranch_execz .LBB11_37
; %bb.39:                               ;   in Loop: Header=BB11_38 Depth=3
	v_cmp_o_f64_e32 vcc, v[0:1], v[0:1]
	v_cmp_o_f64_e64 s[2:3], v[2:3], v[2:3]
	s_and_b64 s[82:83], vcc, s[2:3]
	s_mov_b64 s[2:3], -1
	s_mov_b64 s[78:79], -1
	s_and_saveexec_b64 s[80:81], s[82:83]
	s_cbranch_execz .LBB11_36
; %bb.40:                               ;   in Loop: Header=BB11_38 Depth=3
	s_add_i32 s33, s33, -1
	s_add_u32 s68, s68, 16
	s_addc_u32 s69, s69, 0
	s_cmp_eq_u32 s33, 0
	s_cselect_b64 s[2:3], -1, 0
	s_xor_b64 s[78:79], exec, -1
	s_orn2_b64 s[2:3], s[2:3], exec
	s_branch .LBB11_36
.LBB11_41:                              ;   in Loop: Header=BB11_34 Depth=2
	s_or_b64 exec, exec, s[66:67]
	s_branch .LBB11_43
.LBB11_42:                              ;   in Loop: Header=BB11_34 Depth=2
	s_mov_b64 s[64:65], -1
                                        ; implicit-def: $sgpr62_sgpr63
                                        ; implicit-def: $vgpr18
.LBB11_43:                              ;   in Loop: Header=BB11_34 Depth=2
	s_andn2_b64 s[2:3], s[58:59], exec
	s_and_b64 s[58:59], s[62:63], exec
	s_or_b64 s[58:59], s[2:3], s[58:59]
	s_and_saveexec_b64 s[2:3], s[64:65]
	s_cbranch_execz .LBB11_33
; %bb.44:                               ;   in Loop: Header=BB11_34 Depth=2
	s_add_i32 s9, s9, 1
	s_add_i32 s16, s16, s21
	s_cmp_eq_u32 s9, s20
	s_cselect_b64 s[60:61], -1, 0
	s_andn2_b64 s[62:63], s[62:63], exec
	s_andn2_b64 s[58:59], s[58:59], exec
	s_orn2_b64 s[60:61], s[60:61], exec
                                        ; implicit-def: $vgpr18
	s_branch .LBB11_33
.LBB11_45:                              ;   in Loop: Header=BB11_9 Depth=1
	s_or_b64 exec, exec, s[56:57]
.LBB11_46:                              ;   in Loop: Header=BB11_9 Depth=1
	s_mov_b64 s[2:3], -1
	s_and_saveexec_b64 s[56:57], s[6:7]
	s_cbranch_execz .LBB11_6
.LBB11_47:                              ;   in Loop: Header=BB11_9 Depth=1
	s_and_b64 vcc, exec, s[36:37]
	s_cbranch_vccz .LBB11_51
; %bb.48:                               ;   in Loop: Header=BB11_9 Depth=1
	s_and_b64 vcc, exec, s[38:39]
	s_cbranch_vccz .LBB11_52
; %bb.49:                               ;   in Loop: Header=BB11_9 Depth=1
	v_cmp_le_u32_e32 vcc, v4, v17
	v_mov_b32_e32 v18, 7
	s_or_b64 s[58:59], s[52:53], exec
	s_and_b64 s[6:7], vcc, exec
	s_cbranch_execz .LBB11_53
	s_branch .LBB11_54
.LBB11_50:                              ;   in Loop: Header=BB11_9 Depth=1
	s_mov_b64 s[6:7], -1
	s_mov_b64 s[2:3], -1
	s_and_saveexec_b64 s[56:57], s[6:7]
	s_cbranch_execz .LBB11_6
	s_branch .LBB11_47
.LBB11_51:                              ;   in Loop: Header=BB11_9 Depth=1
	s_mov_b64 s[6:7], -1
	s_mov_b64 s[58:59], s[52:53]
	s_branch .LBB11_54
.LBB11_52:                              ;   in Loop: Header=BB11_9 Depth=1
	s_mov_b64 s[6:7], 0
	s_mov_b64 s[58:59], s[52:53]
.LBB11_53:                              ;   in Loop: Header=BB11_9 Depth=1
	v_cmp_ge_u32_e32 vcc, v4, v17
	s_andn2_b64 s[6:7], s[6:7], exec
	s_and_b64 s[60:61], vcc, exec
	v_mov_b32_e32 v18, 7
	s_or_b64 s[58:59], s[58:59], exec
	s_or_b64 s[6:7], s[6:7], s[60:61]
.LBB11_54:                              ;   in Loop: Header=BB11_9 Depth=1
	s_and_saveexec_b64 s[60:61], s[6:7]
	s_cbranch_execz .LBB11_5
; %bb.55:                               ;   in Loop: Header=BB11_9 Depth=1
	s_or_b64 s[62:63], s[14:15], s[54:55]
	s_xor_b64 s[2:3], s[62:63], -1
	s_mov_b64 s[54:55], s[58:59]
	s_and_saveexec_b64 s[64:65], s[2:3]
	s_cbranch_execz .LBB11_57
; %bb.56:                               ;   in Loop: Header=BB11_9 Depth=1
	global_load_dword v0, v[14:15], off offset:-4
	v_mov_b32_e32 v18, 6
	s_or_b64 s[54:55], s[58:59], exec
	s_waitcnt vmcnt(0)
	v_subrev_u32_e32 v1, s12, v0
	v_cmp_lt_i32_e64 s[2:3], -1, v1
	v_cmp_gt_i32_e64 s[6:7], s18, v1
	s_and_b64 s[2:3], s[2:3], s[6:7]
	v_cmp_gt_i32_e32 vcc, v16, v0
	s_xor_b64 s[2:3], s[2:3], -1
	s_or_b64 s[2:3], vcc, s[2:3]
	s_andn2_b64 s[6:7], s[62:63], exec
	s_and_b64 s[2:3], s[2:3], exec
	s_or_b64 s[62:63], s[6:7], s[2:3]
.LBB11_57:                              ;   in Loop: Header=BB11_9 Depth=1
	s_or_b64 exec, exec, s[64:65]
	s_mov_b64 s[2:3], -1
	s_and_saveexec_b64 s[6:7], s[62:63]
	s_cbranch_execz .LBB11_4
; %bb.58:                               ;   in Loop: Header=BB11_9 Depth=1
	v_add_co_u32_e32 v12, vcc, 1, v12
	v_addc_co_u32_e32 v13, vcc, 0, v13, vcc
	v_mov_b32_e32 v0, s23
	v_add_co_u32_e32 v10, vcc, s22, v10
	v_addc_co_u32_e32 v5, vcc, v5, v0, vcc
	v_cmp_ge_i64_e32 vcc, v[12:13], v[8:9]
	s_andn2_b64 s[54:55], s[54:55], exec
	s_orn2_b64 s[2:3], vcc, exec
                                        ; implicit-def: $vgpr18
	s_branch .LBB11_4
.LBB11_59:
	s_or_b64 exec, exec, s[10:11]
	s_and_b64 s[6:7], s[42:43], exec
.LBB11_60:
	s_or_b64 exec, exec, s[26:27]
	s_orn2_b64 s[8:9], s[6:7], exec
.LBB11_61:
	s_or_b64 exec, exec, s[24:25]
	s_and_b64 exec, exec, s[8:9]
	s_cbranch_execz .LBB11_63
; %bb.62:
	s_load_dwordx2 s[0:1], s[4:5], 0x50
	v_mov_b32_e32 v0, 0
	s_waitcnt lgkmcnt(0)
	global_store_dword v0, v18, s[0:1]
.LBB11_63:
	s_endpgm
	.section	.rodata,"a",@progbits
	.p2align	6, 0x0
	.amdhsa_kernel _ZN9rocsparseL25check_matrix_gebsr_deviceILj256E21rocsparse_complex_numIdEliEEv20rocsparse_direction_T2_S4_T1_S4_S4_PKT0_PKS5_PKS4_SC_21rocsparse_index_base_22rocsparse_matrix_type_20rocsparse_fill_mode_23rocsparse_storage_mode_P22rocsparse_data_status_
		.amdhsa_group_segment_fixed_size 0
		.amdhsa_private_segment_fixed_size 0
		.amdhsa_kernarg_size 88
		.amdhsa_user_sgpr_count 6
		.amdhsa_user_sgpr_private_segment_buffer 1
		.amdhsa_user_sgpr_dispatch_ptr 0
		.amdhsa_user_sgpr_queue_ptr 0
		.amdhsa_user_sgpr_kernarg_segment_ptr 1
		.amdhsa_user_sgpr_dispatch_id 0
		.amdhsa_user_sgpr_flat_scratch_init 0
		.amdhsa_user_sgpr_kernarg_preload_length 0
		.amdhsa_user_sgpr_kernarg_preload_offset 0
		.amdhsa_user_sgpr_private_segment_size 0
		.amdhsa_uses_dynamic_stack 0
		.amdhsa_system_sgpr_private_segment_wavefront_offset 0
		.amdhsa_system_sgpr_workgroup_id_x 1
		.amdhsa_system_sgpr_workgroup_id_y 0
		.amdhsa_system_sgpr_workgroup_id_z 0
		.amdhsa_system_sgpr_workgroup_info 0
		.amdhsa_system_vgpr_workitem_id 0
		.amdhsa_next_free_vgpr 19
		.amdhsa_next_free_sgpr 84
		.amdhsa_accum_offset 20
		.amdhsa_reserve_vcc 1
		.amdhsa_reserve_flat_scratch 0
		.amdhsa_float_round_mode_32 0
		.amdhsa_float_round_mode_16_64 0
		.amdhsa_float_denorm_mode_32 3
		.amdhsa_float_denorm_mode_16_64 3
		.amdhsa_dx10_clamp 1
		.amdhsa_ieee_mode 1
		.amdhsa_fp16_overflow 0
		.amdhsa_tg_split 0
		.amdhsa_exception_fp_ieee_invalid_op 0
		.amdhsa_exception_fp_denorm_src 0
		.amdhsa_exception_fp_ieee_div_zero 0
		.amdhsa_exception_fp_ieee_overflow 0
		.amdhsa_exception_fp_ieee_underflow 0
		.amdhsa_exception_fp_ieee_inexact 0
		.amdhsa_exception_int_div_zero 0
	.end_amdhsa_kernel
	.section	.text._ZN9rocsparseL25check_matrix_gebsr_deviceILj256E21rocsparse_complex_numIdEliEEv20rocsparse_direction_T2_S4_T1_S4_S4_PKT0_PKS5_PKS4_SC_21rocsparse_index_base_22rocsparse_matrix_type_20rocsparse_fill_mode_23rocsparse_storage_mode_P22rocsparse_data_status_,"axG",@progbits,_ZN9rocsparseL25check_matrix_gebsr_deviceILj256E21rocsparse_complex_numIdEliEEv20rocsparse_direction_T2_S4_T1_S4_S4_PKT0_PKS5_PKS4_SC_21rocsparse_index_base_22rocsparse_matrix_type_20rocsparse_fill_mode_23rocsparse_storage_mode_P22rocsparse_data_status_,comdat
.Lfunc_end11:
	.size	_ZN9rocsparseL25check_matrix_gebsr_deviceILj256E21rocsparse_complex_numIdEliEEv20rocsparse_direction_T2_S4_T1_S4_S4_PKT0_PKS5_PKS4_SC_21rocsparse_index_base_22rocsparse_matrix_type_20rocsparse_fill_mode_23rocsparse_storage_mode_P22rocsparse_data_status_, .Lfunc_end11-_ZN9rocsparseL25check_matrix_gebsr_deviceILj256E21rocsparse_complex_numIdEliEEv20rocsparse_direction_T2_S4_T1_S4_S4_PKT0_PKS5_PKS4_SC_21rocsparse_index_base_22rocsparse_matrix_type_20rocsparse_fill_mode_23rocsparse_storage_mode_P22rocsparse_data_status_
                                        ; -- End function
	.section	.AMDGPU.csdata,"",@progbits
; Kernel info:
; codeLenInByte = 1804
; NumSgprs: 88
; NumVgprs: 19
; NumAgprs: 0
; TotalNumVgprs: 19
; ScratchSize: 0
; MemoryBound: 0
; FloatMode: 240
; IeeeMode: 1
; LDSByteSize: 0 bytes/workgroup (compile time only)
; SGPRBlocks: 10
; VGPRBlocks: 2
; NumSGPRsForWavesPerEU: 88
; NumVGPRsForWavesPerEU: 19
; AccumOffset: 20
; Occupancy: 8
; WaveLimiterHint : 0
; COMPUTE_PGM_RSRC2:SCRATCH_EN: 0
; COMPUTE_PGM_RSRC2:USER_SGPR: 6
; COMPUTE_PGM_RSRC2:TRAP_HANDLER: 0
; COMPUTE_PGM_RSRC2:TGID_X_EN: 1
; COMPUTE_PGM_RSRC2:TGID_Y_EN: 0
; COMPUTE_PGM_RSRC2:TGID_Z_EN: 0
; COMPUTE_PGM_RSRC2:TIDIG_COMP_CNT: 0
; COMPUTE_PGM_RSRC3_GFX90A:ACCUM_OFFSET: 4
; COMPUTE_PGM_RSRC3_GFX90A:TG_SPLIT: 0
	.section	.text._ZN9rocsparseL19check_row_ptr_arrayILj256EllEEvT1_PKT0_P22rocsparse_data_status_,"axG",@progbits,_ZN9rocsparseL19check_row_ptr_arrayILj256EllEEvT1_PKT0_P22rocsparse_data_status_,comdat
	.globl	_ZN9rocsparseL19check_row_ptr_arrayILj256EllEEvT1_PKT0_P22rocsparse_data_status_ ; -- Begin function _ZN9rocsparseL19check_row_ptr_arrayILj256EllEEvT1_PKT0_P22rocsparse_data_status_
	.p2align	8
	.type	_ZN9rocsparseL19check_row_ptr_arrayILj256EllEEvT1_PKT0_P22rocsparse_data_status_,@function
_ZN9rocsparseL19check_row_ptr_arrayILj256EllEEvT1_PKT0_P22rocsparse_data_status_: ; @_ZN9rocsparseL19check_row_ptr_arrayILj256EllEEvT1_PKT0_P22rocsparse_data_status_
; %bb.0:
	s_load_dwordx2 s[0:1], s[4:5], 0x0
	v_lshl_or_b32 v0, s6, 8, v0
	v_mov_b32_e32 v1, 0
	s_waitcnt lgkmcnt(0)
	v_cmp_gt_i64_e32 vcc, s[0:1], v[0:1]
	s_and_saveexec_b64 s[0:1], vcc
	s_cbranch_execz .LBB12_3
; %bb.1:
	s_load_dwordx2 s[0:1], s[4:5], 0x8
	v_lshlrev_b64 v[0:1], 3, v[0:1]
	s_waitcnt lgkmcnt(0)
	v_mov_b32_e32 v2, s1
	v_add_co_u32_e32 v0, vcc, s0, v0
	v_addc_co_u32_e32 v1, vcc, v2, v1, vcc
	global_load_dwordx4 v[0:3], v[0:1], off
	s_load_dwordx2 s[0:1], s[0:1], 0x0
	s_waitcnt vmcnt(0) lgkmcnt(0)
	v_cmp_gt_i64_e32 vcc, s[0:1], v[0:1]
	v_cmp_gt_i64_e64 s[0:1], s[0:1], v[2:3]
	v_cmp_lt_i64_e64 s[2:3], v[2:3], v[0:1]
	s_or_b64 s[0:1], s[0:1], s[2:3]
	s_or_b64 s[0:1], vcc, s[0:1]
	s_and_b64 exec, exec, s[0:1]
	s_cbranch_execz .LBB12_3
; %bb.2:
	s_load_dwordx2 s[0:1], s[4:5], 0x10
	v_mov_b32_e32 v0, 0
	v_mov_b32_e32 v1, 3
	s_waitcnt lgkmcnt(0)
	global_store_dword v0, v1, s[0:1]
.LBB12_3:
	s_endpgm
	.section	.rodata,"a",@progbits
	.p2align	6, 0x0
	.amdhsa_kernel _ZN9rocsparseL19check_row_ptr_arrayILj256EllEEvT1_PKT0_P22rocsparse_data_status_
		.amdhsa_group_segment_fixed_size 0
		.amdhsa_private_segment_fixed_size 0
		.amdhsa_kernarg_size 24
		.amdhsa_user_sgpr_count 6
		.amdhsa_user_sgpr_private_segment_buffer 1
		.amdhsa_user_sgpr_dispatch_ptr 0
		.amdhsa_user_sgpr_queue_ptr 0
		.amdhsa_user_sgpr_kernarg_segment_ptr 1
		.amdhsa_user_sgpr_dispatch_id 0
		.amdhsa_user_sgpr_flat_scratch_init 0
		.amdhsa_user_sgpr_kernarg_preload_length 0
		.amdhsa_user_sgpr_kernarg_preload_offset 0
		.amdhsa_user_sgpr_private_segment_size 0
		.amdhsa_uses_dynamic_stack 0
		.amdhsa_system_sgpr_private_segment_wavefront_offset 0
		.amdhsa_system_sgpr_workgroup_id_x 1
		.amdhsa_system_sgpr_workgroup_id_y 0
		.amdhsa_system_sgpr_workgroup_id_z 0
		.amdhsa_system_sgpr_workgroup_info 0
		.amdhsa_system_vgpr_workitem_id 0
		.amdhsa_next_free_vgpr 4
		.amdhsa_next_free_sgpr 7
		.amdhsa_accum_offset 4
		.amdhsa_reserve_vcc 1
		.amdhsa_reserve_flat_scratch 0
		.amdhsa_float_round_mode_32 0
		.amdhsa_float_round_mode_16_64 0
		.amdhsa_float_denorm_mode_32 3
		.amdhsa_float_denorm_mode_16_64 3
		.amdhsa_dx10_clamp 1
		.amdhsa_ieee_mode 1
		.amdhsa_fp16_overflow 0
		.amdhsa_tg_split 0
		.amdhsa_exception_fp_ieee_invalid_op 0
		.amdhsa_exception_fp_denorm_src 0
		.amdhsa_exception_fp_ieee_div_zero 0
		.amdhsa_exception_fp_ieee_overflow 0
		.amdhsa_exception_fp_ieee_underflow 0
		.amdhsa_exception_fp_ieee_inexact 0
		.amdhsa_exception_int_div_zero 0
	.end_amdhsa_kernel
	.section	.text._ZN9rocsparseL19check_row_ptr_arrayILj256EllEEvT1_PKT0_P22rocsparse_data_status_,"axG",@progbits,_ZN9rocsparseL19check_row_ptr_arrayILj256EllEEvT1_PKT0_P22rocsparse_data_status_,comdat
.Lfunc_end12:
	.size	_ZN9rocsparseL19check_row_ptr_arrayILj256EllEEvT1_PKT0_P22rocsparse_data_status_, .Lfunc_end12-_ZN9rocsparseL19check_row_ptr_arrayILj256EllEEvT1_PKT0_P22rocsparse_data_status_
                                        ; -- End function
	.section	.AMDGPU.csdata,"",@progbits
; Kernel info:
; codeLenInByte = 156
; NumSgprs: 11
; NumVgprs: 4
; NumAgprs: 0
; TotalNumVgprs: 4
; ScratchSize: 0
; MemoryBound: 0
; FloatMode: 240
; IeeeMode: 1
; LDSByteSize: 0 bytes/workgroup (compile time only)
; SGPRBlocks: 1
; VGPRBlocks: 0
; NumSGPRsForWavesPerEU: 11
; NumVGPRsForWavesPerEU: 4
; AccumOffset: 4
; Occupancy: 8
; WaveLimiterHint : 0
; COMPUTE_PGM_RSRC2:SCRATCH_EN: 0
; COMPUTE_PGM_RSRC2:USER_SGPR: 6
; COMPUTE_PGM_RSRC2:TRAP_HANDLER: 0
; COMPUTE_PGM_RSRC2:TGID_X_EN: 1
; COMPUTE_PGM_RSRC2:TGID_Y_EN: 0
; COMPUTE_PGM_RSRC2:TGID_Z_EN: 0
; COMPUTE_PGM_RSRC2:TIDIG_COMP_CNT: 0
; COMPUTE_PGM_RSRC3_GFX90A:ACCUM_OFFSET: 0
; COMPUTE_PGM_RSRC3_GFX90A:TG_SPLIT: 0
	.section	.text._ZN9rocsparseL20shift_offsets_kernelILj512EllEEvT1_PKT0_PS2_,"axG",@progbits,_ZN9rocsparseL20shift_offsets_kernelILj512EllEEvT1_PKT0_PS2_,comdat
	.globl	_ZN9rocsparseL20shift_offsets_kernelILj512EllEEvT1_PKT0_PS2_ ; -- Begin function _ZN9rocsparseL20shift_offsets_kernelILj512EllEEvT1_PKT0_PS2_
	.p2align	8
	.type	_ZN9rocsparseL20shift_offsets_kernelILj512EllEEvT1_PKT0_PS2_,@function
_ZN9rocsparseL20shift_offsets_kernelILj512EllEEvT1_PKT0_PS2_: ; @_ZN9rocsparseL20shift_offsets_kernelILj512EllEEvT1_PKT0_PS2_
; %bb.0:
	s_load_dwordx2 s[0:1], s[4:5], 0x0
	v_lshl_or_b32 v0, s6, 9, v0
	v_mov_b32_e32 v1, 0
	s_waitcnt lgkmcnt(0)
	v_cmp_gt_i64_e32 vcc, s[0:1], v[0:1]
	s_and_saveexec_b64 s[0:1], vcc
	s_cbranch_execz .LBB13_2
; %bb.1:
	s_load_dwordx4 s[0:3], s[4:5], 0x8
	v_lshlrev_b64 v[0:1], 3, v[0:1]
	s_waitcnt lgkmcnt(0)
	v_mov_b32_e32 v3, s1
	v_add_co_u32_e32 v2, vcc, s0, v0
	v_addc_co_u32_e32 v3, vcc, v3, v1, vcc
	global_load_dwordx2 v[2:3], v[2:3], off
	s_load_dwordx2 s[0:1], s[0:1], 0x0
	v_mov_b32_e32 v4, s3
	v_add_co_u32_e32 v0, vcc, s2, v0
	v_addc_co_u32_e32 v1, vcc, v4, v1, vcc
	s_waitcnt lgkmcnt(0)
	v_mov_b32_e32 v4, s1
	s_waitcnt vmcnt(0)
	v_subrev_co_u32_e32 v2, vcc, s0, v2
	v_subb_co_u32_e32 v3, vcc, v3, v4, vcc
	global_store_dwordx2 v[0:1], v[2:3], off
.LBB13_2:
	s_endpgm
	.section	.rodata,"a",@progbits
	.p2align	6, 0x0
	.amdhsa_kernel _ZN9rocsparseL20shift_offsets_kernelILj512EllEEvT1_PKT0_PS2_
		.amdhsa_group_segment_fixed_size 0
		.amdhsa_private_segment_fixed_size 0
		.amdhsa_kernarg_size 24
		.amdhsa_user_sgpr_count 6
		.amdhsa_user_sgpr_private_segment_buffer 1
		.amdhsa_user_sgpr_dispatch_ptr 0
		.amdhsa_user_sgpr_queue_ptr 0
		.amdhsa_user_sgpr_kernarg_segment_ptr 1
		.amdhsa_user_sgpr_dispatch_id 0
		.amdhsa_user_sgpr_flat_scratch_init 0
		.amdhsa_user_sgpr_kernarg_preload_length 0
		.amdhsa_user_sgpr_kernarg_preload_offset 0
		.amdhsa_user_sgpr_private_segment_size 0
		.amdhsa_uses_dynamic_stack 0
		.amdhsa_system_sgpr_private_segment_wavefront_offset 0
		.amdhsa_system_sgpr_workgroup_id_x 1
		.amdhsa_system_sgpr_workgroup_id_y 0
		.amdhsa_system_sgpr_workgroup_id_z 0
		.amdhsa_system_sgpr_workgroup_info 0
		.amdhsa_system_vgpr_workitem_id 0
		.amdhsa_next_free_vgpr 5
		.amdhsa_next_free_sgpr 7
		.amdhsa_accum_offset 8
		.amdhsa_reserve_vcc 1
		.amdhsa_reserve_flat_scratch 0
		.amdhsa_float_round_mode_32 0
		.amdhsa_float_round_mode_16_64 0
		.amdhsa_float_denorm_mode_32 3
		.amdhsa_float_denorm_mode_16_64 3
		.amdhsa_dx10_clamp 1
		.amdhsa_ieee_mode 1
		.amdhsa_fp16_overflow 0
		.amdhsa_tg_split 0
		.amdhsa_exception_fp_ieee_invalid_op 0
		.amdhsa_exception_fp_denorm_src 0
		.amdhsa_exception_fp_ieee_div_zero 0
		.amdhsa_exception_fp_ieee_overflow 0
		.amdhsa_exception_fp_ieee_underflow 0
		.amdhsa_exception_fp_ieee_inexact 0
		.amdhsa_exception_int_div_zero 0
	.end_amdhsa_kernel
	.section	.text._ZN9rocsparseL20shift_offsets_kernelILj512EllEEvT1_PKT0_PS2_,"axG",@progbits,_ZN9rocsparseL20shift_offsets_kernelILj512EllEEvT1_PKT0_PS2_,comdat
.Lfunc_end13:
	.size	_ZN9rocsparseL20shift_offsets_kernelILj512EllEEvT1_PKT0_PS2_, .Lfunc_end13-_ZN9rocsparseL20shift_offsets_kernelILj512EllEEvT1_PKT0_PS2_
                                        ; -- End function
	.section	.AMDGPU.csdata,"",@progbits
; Kernel info:
; codeLenInByte = 128
; NumSgprs: 11
; NumVgprs: 5
; NumAgprs: 0
; TotalNumVgprs: 5
; ScratchSize: 0
; MemoryBound: 1
; FloatMode: 240
; IeeeMode: 1
; LDSByteSize: 0 bytes/workgroup (compile time only)
; SGPRBlocks: 1
; VGPRBlocks: 0
; NumSGPRsForWavesPerEU: 11
; NumVGPRsForWavesPerEU: 5
; AccumOffset: 8
; Occupancy: 8
; WaveLimiterHint : 0
; COMPUTE_PGM_RSRC2:SCRATCH_EN: 0
; COMPUTE_PGM_RSRC2:USER_SGPR: 6
; COMPUTE_PGM_RSRC2:TRAP_HANDLER: 0
; COMPUTE_PGM_RSRC2:TGID_X_EN: 1
; COMPUTE_PGM_RSRC2:TGID_Y_EN: 0
; COMPUTE_PGM_RSRC2:TGID_Z_EN: 0
; COMPUTE_PGM_RSRC2:TIDIG_COMP_CNT: 0
; COMPUTE_PGM_RSRC3_GFX90A:ACCUM_OFFSET: 1
; COMPUTE_PGM_RSRC3_GFX90A:TG_SPLIT: 0
	.section	.text._ZN9rocsparseL25check_matrix_gebsr_deviceILj256EfllEEv20rocsparse_direction_T2_S2_T1_S2_S2_PKT0_PKS3_PKS2_SA_21rocsparse_index_base_22rocsparse_matrix_type_20rocsparse_fill_mode_23rocsparse_storage_mode_P22rocsparse_data_status_,"axG",@progbits,_ZN9rocsparseL25check_matrix_gebsr_deviceILj256EfllEEv20rocsparse_direction_T2_S2_T1_S2_S2_PKT0_PKS3_PKS2_SA_21rocsparse_index_base_22rocsparse_matrix_type_20rocsparse_fill_mode_23rocsparse_storage_mode_P22rocsparse_data_status_,comdat
	.globl	_ZN9rocsparseL25check_matrix_gebsr_deviceILj256EfllEEv20rocsparse_direction_T2_S2_T1_S2_S2_PKT0_PKS3_PKS2_SA_21rocsparse_index_base_22rocsparse_matrix_type_20rocsparse_fill_mode_23rocsparse_storage_mode_P22rocsparse_data_status_ ; -- Begin function _ZN9rocsparseL25check_matrix_gebsr_deviceILj256EfllEEv20rocsparse_direction_T2_S2_T1_S2_S2_PKT0_PKS3_PKS2_SA_21rocsparse_index_base_22rocsparse_matrix_type_20rocsparse_fill_mode_23rocsparse_storage_mode_P22rocsparse_data_status_
	.p2align	8
	.type	_ZN9rocsparseL25check_matrix_gebsr_deviceILj256EfllEEv20rocsparse_direction_T2_S2_T1_S2_S2_PKT0_PKS3_PKS2_SA_21rocsparse_index_base_22rocsparse_matrix_type_20rocsparse_fill_mode_23rocsparse_storage_mode_P22rocsparse_data_status_,@function
_ZN9rocsparseL25check_matrix_gebsr_deviceILj256EfllEEv20rocsparse_direction_T2_S2_T1_S2_S2_PKT0_PKS3_PKS2_SA_21rocsparse_index_base_22rocsparse_matrix_type_20rocsparse_fill_mode_23rocsparse_storage_mode_P22rocsparse_data_status_: ; @_ZN9rocsparseL25check_matrix_gebsr_deviceILj256EfllEEv20rocsparse_direction_T2_S2_T1_S2_S2_PKT0_PKS3_PKS2_SA_21rocsparse_index_base_22rocsparse_matrix_type_20rocsparse_fill_mode_23rocsparse_storage_mode_P22rocsparse_data_status_
; %bb.0:
	s_load_dwordx4 s[16:19], s[4:5], 0x8
	v_lshl_or_b32 v4, s6, 8, v0
	v_mov_b32_e32 v5, 0
	s_waitcnt lgkmcnt(0)
	v_cmp_gt_i64_e32 vcc, s[16:17], v[4:5]
	s_and_saveexec_b64 s[0:1], vcc
	s_cbranch_execz .LBB14_63
; %bb.1:
	s_load_dwordx2 s[0:1], s[4:5], 0x38
	v_lshlrev_b64 v[0:1], 3, v[4:5]
	s_mov_b64 s[10:11], -1
	s_mov_b64 s[8:9], 0
	v_mov_b32_e32 v22, 3
	s_waitcnt lgkmcnt(0)
	v_mov_b32_e32 v2, s1
	v_add_co_u32_e32 v0, vcc, s0, v0
	v_addc_co_u32_e32 v1, vcc, v2, v1, vcc
	global_load_dwordx4 v[0:3], v[0:1], off
	s_load_dwordx2 s[0:1], s[0:1], 0x0
	s_waitcnt lgkmcnt(0)
	v_mov_b32_e32 v9, s1
	s_waitcnt vmcnt(0)
	v_subrev_co_u32_e32 v6, vcc, s0, v0
	v_subb_co_u32_e32 v7, vcc, v1, v9, vcc
	v_subrev_co_u32_e32 v8, vcc, s0, v2
	v_subb_co_u32_e32 v9, vcc, v3, v9, vcc
	v_cmp_lt_i64_e32 vcc, v[2:3], v[0:1]
	v_cmp_gt_i64_e64 s[2:3], 0, v[8:9]
	s_or_b64 s[2:3], s[2:3], vcc
	v_cmp_lt_i64_e64 s[0:1], -1, v[6:7]
	s_xor_b64 s[2:3], s[2:3], -1
	s_and_b64 s[0:1], s[0:1], s[2:3]
	s_and_saveexec_b64 s[6:7], s[0:1]
	s_cbranch_execz .LBB14_61
; %bb.2:
	v_cmp_lt_i64_e32 vcc, v[0:1], v[2:3]
	v_mov_b32_e32 v22, 3
	s_and_saveexec_b64 s[16:17], vcc
	s_cbranch_execz .LBB14_60
; %bb.3:
	s_load_dwordx8 s[8:15], s[4:5], 0x40
	s_load_dword s2, s[4:5], 0x0
	s_load_dwordx2 s[0:1], s[4:5], 0x30
	s_load_dwordx4 s[20:23], s[4:5], 0x20
	s_mov_b32 s33, 0
	s_waitcnt lgkmcnt(0)
	s_mov_b32 s82, s12
	s_cmp_lg_u32 s2, 0
	s_cselect_b64 s[26:27], -1, 0
	s_cmp_lg_u32 s13, 0
	s_cselect_b64 s[12:13], -1, 0
	;; [unrolled: 2-line block ×4, first 2 shown]
	s_add_u32 s83, s10, -8
	s_mul_i32 s2, s22, s21
	s_mul_hi_u32 s3, s22, s20
	s_addc_u32 s84, s11, -1
	s_add_i32 s2, s3, s2
	s_mul_i32 s3, s23, s20
	s_add_i32 s3, s2, s3
	s_mul_i32 s2, s22, s20
	v_mul_lo_u32 v2, s3, v6
	v_mul_lo_u32 v3, s2, v7
	v_mad_u64_u32 v[0:1], s[10:11], s2, v6, 0
	v_add3_u32 v1, v1, v3, v2
	v_lshlrev_b64 v[0:1], 2, v[0:1]
	v_mov_b32_e32 v2, s1
	v_add_co_u32_e32 v0, vcc, s0, v0
	s_mov_b64 s[24:25], 0
	v_cmp_gt_i64_e64 s[28:29], s[22:23], 0
	v_addc_co_u32_e32 v1, vcc, v2, v1, vcc
	s_lshl_b64 s[10:11], s[2:3], 2
	s_lshl_b64 s[34:35], s[20:21], 2
	;; [unrolled: 1-line block ×3, first 2 shown]
	v_mov_b32_e32 v20, s9
	v_mov_b32_e32 v21, s33
	v_cmp_gt_i64_e64 s[38:39], s[20:21], 0
	s_mov_b32 s9, 0x7f800000
	v_pk_mov_b32 v[2:3], v[6:7], v[6:7] op_sel:[0,1]
                                        ; implicit-def: $sgpr40_sgpr41
                                        ; implicit-def: $sgpr42_sgpr43
                                        ; implicit-def: $sgpr44_sgpr45
	s_branch .LBB14_9
.LBB14_4:                               ;   in Loop: Header=BB14_9 Depth=1
	s_or_b64 exec, exec, s[2:3]
	s_andn2_b64 s[2:3], s[56:57], exec
	s_and_b64 s[52:53], s[52:53], exec
	s_or_b64 s[56:57], s[2:3], s[52:53]
	s_orn2_b64 s[0:1], s[0:1], exec
.LBB14_5:                               ;   in Loop: Header=BB14_9 Depth=1
	s_or_b64 exec, exec, s[58:59]
	s_andn2_b64 s[2:3], s[50:51], exec
	s_and_b64 s[50:51], s[56:57], exec
	s_or_b64 s[50:51], s[2:3], s[50:51]
	s_orn2_b64 s[2:3], s[0:1], exec
.LBB14_6:                               ;   in Loop: Header=BB14_9 Depth=1
	s_or_b64 exec, exec, s[54:55]
	s_orn2_b64 s[50:51], s[50:51], exec
	s_orn2_b64 s[0:1], s[2:3], exec
.LBB14_7:                               ;   in Loop: Header=BB14_9 Depth=1
	s_or_b64 exec, exec, s[48:49]
	s_andn2_b64 s[2:3], s[44:45], exec
	s_and_b64 s[44:45], s[50:51], exec
	s_or_b64 s[44:45], s[2:3], s[44:45]
	s_andn2_b64 s[2:3], s[42:43], exec
	s_and_b64 s[0:1], s[0:1], exec
	s_or_b64 s[42:43], s[2:3], s[0:1]
.LBB14_8:                               ;   in Loop: Header=BB14_9 Depth=1
	s_or_b64 exec, exec, s[46:47]
	s_and_b64 s[0:1], exec, s[42:43]
	s_or_b64 s[24:25], s[0:1], s[24:25]
	s_andn2_b64 s[0:1], s[40:41], exec
	s_and_b64 s[2:3], s[44:45], exec
	s_or_b64 s[40:41], s[0:1], s[2:3]
	s_andn2_b64 exec, exec, s[24:25]
	s_cbranch_execz .LBB14_59
.LBB14_9:                               ; =>This Loop Header: Depth=1
                                        ;     Child Loop BB14_34 Depth 2
                                        ;       Child Loop BB14_38 Depth 3
                                        ;     Child Loop BB14_17 Depth 2
                                        ;       Child Loop BB14_21 Depth 3
	v_lshlrev_b64 v[16:17], 3, v[2:3]
	v_add_co_u32_e32 v12, vcc, s8, v16
	v_addc_co_u32_e32 v13, vcc, v20, v17, vcc
	global_load_dwordx2 v[10:11], v[12:13], off
	v_mov_b32_e32 v22, 4
	s_or_b64 s[44:45], s[44:45], exec
	s_or_b64 s[42:43], s[42:43], exec
	s_waitcnt vmcnt(0)
	v_subrev_co_u32_e32 v14, vcc, s82, v10
	v_subb_co_u32_e32 v15, vcc, v11, v21, vcc
	v_cmp_lt_i64_e32 vcc, -1, v[14:15]
	v_cmp_gt_i64_e64 s[0:1], s[18:19], v[14:15]
	s_and_b64 s[0:1], vcc, s[0:1]
	s_and_saveexec_b64 s[46:47], s[0:1]
	s_cbranch_execz .LBB14_8
; %bb.10:                               ;   in Loop: Header=BB14_9 Depth=1
	v_cmp_le_i64_e64 s[52:53], v[2:3], v[6:7]
	v_cmp_gt_i64_e32 vcc, v[2:3], v[6:7]
	v_mov_b32_e32 v22, 4
	s_mov_b64 s[2:3], s[52:53]
	s_and_saveexec_b64 s[48:49], vcc
	s_cbranch_execz .LBB14_12
; %bb.11:                               ;   in Loop: Header=BB14_9 Depth=1
	v_mov_b32_e32 v18, s84
	v_add_co_u32_e32 v16, vcc, s83, v16
	v_addc_co_u32_e32 v17, vcc, v18, v17, vcc
	global_load_dwordx4 v[16:19], v[16:17], off
	v_mov_b32_e32 v22, 5
	s_waitcnt vmcnt(0)
	v_subrev_co_u32_e32 v24, vcc, s82, v16
	v_subb_co_u32_e32 v25, vcc, v17, v21, vcc
	v_cmp_lt_i64_e64 s[0:1], -1, v[24:25]
	v_cmp_gt_i64_e64 s[2:3], s[18:19], v[24:25]
	s_and_b64 s[0:1], s[0:1], s[2:3]
	v_cmp_ne_u64_e32 vcc, v[18:19], v[16:17]
	s_xor_b64 s[0:1], s[0:1], -1
	s_or_b64 s[0:1], vcc, s[0:1]
	s_andn2_b64 s[2:3], s[52:53], exec
	s_and_b64 s[0:1], s[0:1], exec
	s_or_b64 s[2:3], s[2:3], s[0:1]
.LBB14_12:                              ;   in Loop: Header=BB14_9 Depth=1
	s_or_b64 exec, exec, s[48:49]
	s_mov_b64 s[0:1], -1
	s_mov_b64 s[50:51], -1
	s_and_saveexec_b64 s[48:49], s[2:3]
	s_cbranch_execz .LBB14_7
; %bb.13:                               ;   in Loop: Header=BB14_9 Depth=1
	s_and_b64 vcc, exec, s[26:27]
	s_cbranch_vccz .LBB14_30
; %bb.14:                               ;   in Loop: Header=BB14_9 Depth=1
	s_and_b64 vcc, exec, s[28:29]
	s_cbranch_vccz .LBB14_29
; %bb.15:                               ;   in Loop: Header=BB14_9 Depth=1
	s_mov_b64 s[2:3], 0
	v_pk_mov_b32 v[16:17], v[0:1], v[0:1] op_sel:[0,1]
	s_mov_b64 s[56:57], 0
                                        ; implicit-def: $sgpr0_sgpr1
                                        ; implicit-def: $sgpr50_sgpr51
                                        ; implicit-def: $sgpr54_sgpr55
	s_branch .LBB14_17
.LBB14_16:                              ;   in Loop: Header=BB14_17 Depth=2
	s_or_b64 exec, exec, s[64:65]
	s_xor_b64 s[58:59], s[58:59], -1
	s_and_b64 s[60:61], exec, s[60:61]
	s_or_b64 s[2:3], s[60:61], s[2:3]
	s_andn2_b64 s[50:51], s[50:51], exec
	s_and_b64 s[60:61], s[54:55], exec
	s_andn2_b64 s[0:1], s[0:1], exec
	s_and_b64 s[58:59], s[58:59], exec
	s_or_b64 s[50:51], s[50:51], s[60:61]
	s_or_b64 s[0:1], s[0:1], s[58:59]
	s_andn2_b64 exec, exec, s[2:3]
	s_cbranch_execz .LBB14_28
.LBB14_17:                              ;   Parent Loop BB14_9 Depth=1
                                        ; =>  This Loop Header: Depth=2
                                        ;       Child Loop BB14_21 Depth 3
	s_andn2_b64 vcc, exec, s[38:39]
	s_mov_b64 s[60:61], -1
	s_cbranch_vccnz .LBB14_25
; %bb.18:                               ;   in Loop: Header=BB14_17 Depth=2
	s_mov_b64 s[64:65], 0
	v_pk_mov_b32 v[18:19], v[16:17], v[16:17] op_sel:[0,1]
	s_mov_b64 s[70:71], s[20:21]
                                        ; implicit-def: $sgpr62_sgpr63
                                        ; implicit-def: $sgpr58_sgpr59
                                        ; implicit-def: $sgpr66_sgpr67
                                        ; implicit-def: $sgpr68_sgpr69
	s_branch .LBB14_21
.LBB14_19:                              ;   in Loop: Header=BB14_21 Depth=3
	s_or_b64 exec, exec, s[78:79]
	s_andn2_b64 s[68:69], s[68:69], exec
	s_and_b64 s[78:79], s[80:81], exec
	s_andn2_b64 s[66:67], s[66:67], exec
	s_and_b64 s[76:77], s[76:77], exec
	v_mov_b32_e32 v22, 2
	s_or_b64 s[68:69], s[68:69], s[78:79]
	s_or_b64 s[66:67], s[66:67], s[76:77]
.LBB14_20:                              ;   in Loop: Header=BB14_21 Depth=3
	s_or_b64 exec, exec, s[74:75]
	s_xor_b64 s[74:75], s[68:69], -1
	s_and_b64 s[76:77], exec, s[66:67]
	s_or_b64 s[64:65], s[76:77], s[64:65]
	s_andn2_b64 s[58:59], s[58:59], exec
	s_and_b64 s[72:73], s[72:73], exec
	s_or_b64 s[58:59], s[58:59], s[72:73]
	s_andn2_b64 s[62:63], s[62:63], exec
	s_and_b64 s[72:73], s[74:75], exec
	s_or_b64 s[62:63], s[62:63], s[72:73]
	s_andn2_b64 exec, exec, s[64:65]
	s_cbranch_execz .LBB14_24
.LBB14_21:                              ;   Parent Loop BB14_9 Depth=1
                                        ;     Parent Loop BB14_17 Depth=2
                                        ; =>    This Inner Loop Header: Depth=3
	global_load_dword v23, v[18:19], off
	s_mov_b64 s[72:73], -1
	v_mov_b32_e32 v22, 1
	s_or_b64 s[68:69], s[68:69], exec
	s_or_b64 s[66:67], s[66:67], exec
	s_waitcnt vmcnt(0)
	v_cmp_neq_f32_e32 vcc, s9, v23
	s_and_saveexec_b64 s[74:75], vcc
	s_xor_b64 s[74:75], exec, s[74:75]
	s_cbranch_execz .LBB14_20
; %bb.22:                               ;   in Loop: Header=BB14_21 Depth=3
	v_cmp_o_f32_e32 vcc, v23, v23
	s_mov_b64 s[76:77], -1
	s_mov_b64 s[80:81], -1
	s_and_saveexec_b64 s[78:79], vcc
	s_cbranch_execz .LBB14_19
; %bb.23:                               ;   in Loop: Header=BB14_21 Depth=3
	s_add_u32 s70, s70, -1
	s_addc_u32 s71, s71, -1
	s_cmp_eq_u64 s[70:71], 0
	v_add_co_u32_e32 v18, vcc, 4, v18
	s_cselect_b64 s[76:77], -1, 0
	v_addc_co_u32_e32 v19, vcc, 0, v19, vcc
	s_xor_b64 s[80:81], exec, -1
	s_orn2_b64 s[76:77], s[76:77], exec
	s_branch .LBB14_19
.LBB14_24:                              ;   in Loop: Header=BB14_17 Depth=2
	s_or_b64 exec, exec, s[64:65]
	s_branch .LBB14_26
.LBB14_25:                              ;   in Loop: Header=BB14_17 Depth=2
	s_mov_b64 s[62:63], -1
                                        ; implicit-def: $sgpr58_sgpr59
                                        ; implicit-def: $vgpr22
.LBB14_26:                              ;   in Loop: Header=BB14_17 Depth=2
	s_andn2_b64 s[54:55], s[54:55], exec
	s_and_b64 s[64:65], s[58:59], exec
	s_or_b64 s[54:55], s[54:55], s[64:65]
	s_and_saveexec_b64 s[64:65], s[62:63]
	s_cbranch_execz .LBB14_16
; %bb.27:                               ;   in Loop: Header=BB14_17 Depth=2
	s_add_u32 s56, s56, 1
	s_addc_u32 s57, s57, 0
	s_cmp_eq_u64 s[56:57], s[22:23]
	v_mov_b32_e32 v18, s35
	v_add_co_u32_e32 v16, vcc, s34, v16
	s_cselect_b64 s[60:61], -1, 0
	v_addc_co_u32_e32 v17, vcc, v17, v18, vcc
	s_andn2_b64 s[58:59], s[58:59], exec
	s_andn2_b64 s[54:55], s[54:55], exec
	s_orn2_b64 s[60:61], s[60:61], exec
                                        ; implicit-def: $vgpr22
	s_branch .LBB14_16
.LBB14_28:                              ;   in Loop: Header=BB14_9 Depth=1
	s_or_b64 exec, exec, s[2:3]
.LBB14_29:                              ;   in Loop: Header=BB14_9 Depth=1
	s_branch .LBB14_46
.LBB14_30:                              ;   in Loop: Header=BB14_9 Depth=1
	s_mov_b64 s[0:1], 0
	s_cbranch_execz .LBB14_46
; %bb.31:                               ;   in Loop: Header=BB14_9 Depth=1
	s_and_b64 vcc, exec, s[38:39]
	s_cbranch_vccz .LBB14_50
; %bb.32:                               ;   in Loop: Header=BB14_9 Depth=1
	s_mov_b64 s[2:3], 0
	v_pk_mov_b32 v[16:17], v[0:1], v[0:1] op_sel:[0,1]
	s_mov_b64 s[56:57], 0
                                        ; implicit-def: $sgpr0_sgpr1
                                        ; implicit-def: $sgpr50_sgpr51
                                        ; implicit-def: $sgpr54_sgpr55
	s_branch .LBB14_34
.LBB14_33:                              ;   in Loop: Header=BB14_34 Depth=2
	s_or_b64 exec, exec, s[64:65]
	s_xor_b64 s[58:59], s[58:59], -1
	s_and_b64 s[60:61], exec, s[60:61]
	s_or_b64 s[2:3], s[60:61], s[2:3]
	s_andn2_b64 s[50:51], s[50:51], exec
	s_and_b64 s[60:61], s[54:55], exec
	s_andn2_b64 s[0:1], s[0:1], exec
	s_and_b64 s[58:59], s[58:59], exec
	s_or_b64 s[50:51], s[50:51], s[60:61]
	s_or_b64 s[0:1], s[0:1], s[58:59]
	s_andn2_b64 exec, exec, s[2:3]
	s_cbranch_execz .LBB14_45
.LBB14_34:                              ;   Parent Loop BB14_9 Depth=1
                                        ; =>  This Loop Header: Depth=2
                                        ;       Child Loop BB14_38 Depth 3
	s_andn2_b64 vcc, exec, s[28:29]
	s_mov_b64 s[60:61], -1
	s_cbranch_vccnz .LBB14_42
; %bb.35:                               ;   in Loop: Header=BB14_34 Depth=2
	s_mov_b64 s[64:65], 0
	v_pk_mov_b32 v[18:19], v[16:17], v[16:17] op_sel:[0,1]
	s_mov_b64 s[70:71], s[22:23]
                                        ; implicit-def: $sgpr62_sgpr63
                                        ; implicit-def: $sgpr58_sgpr59
                                        ; implicit-def: $sgpr66_sgpr67
                                        ; implicit-def: $sgpr68_sgpr69
	s_branch .LBB14_38
.LBB14_36:                              ;   in Loop: Header=BB14_38 Depth=3
	s_or_b64 exec, exec, s[78:79]
	s_andn2_b64 s[68:69], s[68:69], exec
	s_and_b64 s[78:79], s[80:81], exec
	s_andn2_b64 s[66:67], s[66:67], exec
	s_and_b64 s[76:77], s[76:77], exec
	v_mov_b32_e32 v22, 2
	s_or_b64 s[68:69], s[68:69], s[78:79]
	s_or_b64 s[66:67], s[66:67], s[76:77]
.LBB14_37:                              ;   in Loop: Header=BB14_38 Depth=3
	s_or_b64 exec, exec, s[74:75]
	s_xor_b64 s[74:75], s[68:69], -1
	s_and_b64 s[76:77], exec, s[66:67]
	s_or_b64 s[64:65], s[76:77], s[64:65]
	s_andn2_b64 s[58:59], s[58:59], exec
	s_and_b64 s[72:73], s[72:73], exec
	s_or_b64 s[58:59], s[58:59], s[72:73]
	s_andn2_b64 s[62:63], s[62:63], exec
	s_and_b64 s[72:73], s[74:75], exec
	s_or_b64 s[62:63], s[62:63], s[72:73]
	s_andn2_b64 exec, exec, s[64:65]
	s_cbranch_execz .LBB14_41
.LBB14_38:                              ;   Parent Loop BB14_9 Depth=1
                                        ;     Parent Loop BB14_34 Depth=2
                                        ; =>    This Inner Loop Header: Depth=3
	global_load_dword v23, v[18:19], off
	s_mov_b64 s[72:73], -1
	v_mov_b32_e32 v22, 1
	s_or_b64 s[68:69], s[68:69], exec
	s_or_b64 s[66:67], s[66:67], exec
	s_waitcnt vmcnt(0)
	v_cmp_neq_f32_e32 vcc, s9, v23
	s_and_saveexec_b64 s[74:75], vcc
	s_xor_b64 s[74:75], exec, s[74:75]
	s_cbranch_execz .LBB14_37
; %bb.39:                               ;   in Loop: Header=BB14_38 Depth=3
	v_cmp_o_f32_e32 vcc, v23, v23
	s_mov_b64 s[76:77], -1
	s_mov_b64 s[80:81], -1
	s_and_saveexec_b64 s[78:79], vcc
	s_cbranch_execz .LBB14_36
; %bb.40:                               ;   in Loop: Header=BB14_38 Depth=3
	s_add_u32 s70, s70, -1
	s_addc_u32 s71, s71, -1
	s_cmp_eq_u64 s[70:71], 0
	v_add_co_u32_e32 v18, vcc, 4, v18
	s_cselect_b64 s[76:77], -1, 0
	v_addc_co_u32_e32 v19, vcc, 0, v19, vcc
	s_xor_b64 s[80:81], exec, -1
	s_orn2_b64 s[76:77], s[76:77], exec
	s_branch .LBB14_36
.LBB14_41:                              ;   in Loop: Header=BB14_34 Depth=2
	s_or_b64 exec, exec, s[64:65]
	s_branch .LBB14_43
.LBB14_42:                              ;   in Loop: Header=BB14_34 Depth=2
	s_mov_b64 s[62:63], -1
                                        ; implicit-def: $sgpr58_sgpr59
                                        ; implicit-def: $vgpr22
.LBB14_43:                              ;   in Loop: Header=BB14_34 Depth=2
	s_andn2_b64 s[54:55], s[54:55], exec
	s_and_b64 s[64:65], s[58:59], exec
	s_or_b64 s[54:55], s[54:55], s[64:65]
	s_and_saveexec_b64 s[64:65], s[62:63]
	s_cbranch_execz .LBB14_33
; %bb.44:                               ;   in Loop: Header=BB14_34 Depth=2
	s_add_u32 s56, s56, 1
	s_addc_u32 s57, s57, 0
	s_cmp_eq_u64 s[56:57], s[20:21]
	v_mov_b32_e32 v18, s37
	v_add_co_u32_e32 v16, vcc, s36, v16
	s_cselect_b64 s[60:61], -1, 0
	v_addc_co_u32_e32 v17, vcc, v17, v18, vcc
	s_andn2_b64 s[58:59], s[58:59], exec
	s_andn2_b64 s[54:55], s[54:55], exec
	s_orn2_b64 s[60:61], s[60:61], exec
                                        ; implicit-def: $vgpr22
	s_branch .LBB14_33
.LBB14_45:                              ;   in Loop: Header=BB14_9 Depth=1
	s_or_b64 exec, exec, s[2:3]
.LBB14_46:                              ;   in Loop: Header=BB14_9 Depth=1
	s_mov_b64 s[2:3], -1
	s_and_saveexec_b64 s[54:55], s[0:1]
	s_cbranch_execz .LBB14_6
.LBB14_47:                              ;   in Loop: Header=BB14_9 Depth=1
	s_mov_b64 s[0:1], -1
	s_and_b64 vcc, exec, s[12:13]
	s_cbranch_vccz .LBB14_51
; %bb.48:                               ;   in Loop: Header=BB14_9 Depth=1
	s_and_b64 vcc, exec, s[30:31]
	s_cbranch_vccz .LBB14_52
; %bb.49:                               ;   in Loop: Header=BB14_9 Depth=1
	v_cmp_ge_i64_e32 vcc, v[14:15], v[4:5]
	v_mov_b32_e32 v22, 7
	s_or_b64 s[56:57], s[50:51], exec
	s_and_b64 s[2:3], vcc, exec
	s_cbranch_execz .LBB14_53
	s_branch .LBB14_54
.LBB14_50:                              ;   in Loop: Header=BB14_9 Depth=1
	s_mov_b64 s[0:1], -1
	s_mov_b64 s[2:3], -1
	s_and_saveexec_b64 s[54:55], s[0:1]
	s_cbranch_execz .LBB14_6
	s_branch .LBB14_47
.LBB14_51:                              ;   in Loop: Header=BB14_9 Depth=1
	s_mov_b64 s[56:57], s[50:51]
	s_branch .LBB14_54
.LBB14_52:                              ;   in Loop: Header=BB14_9 Depth=1
	s_mov_b64 s[2:3], 0
	s_mov_b64 s[56:57], s[50:51]
.LBB14_53:                              ;   in Loop: Header=BB14_9 Depth=1
	v_cmp_le_i64_e32 vcc, v[14:15], v[4:5]
	s_andn2_b64 s[2:3], s[2:3], exec
	s_and_b64 s[58:59], vcc, exec
	v_mov_b32_e32 v22, 7
	s_or_b64 s[56:57], s[56:57], exec
	s_or_b64 s[2:3], s[2:3], s[58:59]
.LBB14_54:                              ;   in Loop: Header=BB14_9 Depth=1
	s_and_saveexec_b64 s[58:59], s[2:3]
	s_cbranch_execz .LBB14_5
; %bb.55:                               ;   in Loop: Header=BB14_9 Depth=1
	s_or_b64 s[60:61], s[14:15], s[52:53]
	s_xor_b64 s[0:1], s[60:61], -1
	s_mov_b64 s[52:53], s[56:57]
	s_and_saveexec_b64 s[62:63], s[0:1]
	s_cbranch_execz .LBB14_57
; %bb.56:                               ;   in Loop: Header=BB14_9 Depth=1
	global_load_dwordx2 v[12:13], v[12:13], off offset:-8
	v_mov_b32_e32 v15, s33
	v_mov_b32_e32 v22, 6
	s_or_b64 s[52:53], s[56:57], exec
	s_waitcnt vmcnt(0)
	v_subrev_co_u32_e32 v14, vcc, s82, v12
	v_subb_co_u32_e32 v15, vcc, v13, v15, vcc
	v_cmp_lt_i64_e64 s[0:1], -1, v[14:15]
	v_cmp_gt_i64_e64 s[2:3], s[18:19], v[14:15]
	s_and_b64 s[0:1], s[0:1], s[2:3]
	v_cmp_gt_i64_e32 vcc, v[10:11], v[12:13]
	s_xor_b64 s[0:1], s[0:1], -1
	s_or_b64 s[0:1], vcc, s[0:1]
	s_andn2_b64 s[2:3], s[60:61], exec
	s_and_b64 s[0:1], s[0:1], exec
	s_or_b64 s[60:61], s[2:3], s[0:1]
.LBB14_57:                              ;   in Loop: Header=BB14_9 Depth=1
	s_or_b64 exec, exec, s[62:63]
	s_mov_b64 s[0:1], -1
	s_and_saveexec_b64 s[2:3], s[60:61]
	s_cbranch_execz .LBB14_4
; %bb.58:                               ;   in Loop: Header=BB14_9 Depth=1
	v_add_co_u32_e32 v2, vcc, 1, v2
	v_addc_co_u32_e32 v3, vcc, 0, v3, vcc
	v_mov_b32_e32 v10, s11
	v_add_co_u32_e32 v0, vcc, s10, v0
	v_addc_co_u32_e32 v1, vcc, v1, v10, vcc
	v_cmp_ge_i64_e32 vcc, v[2:3], v[8:9]
	s_andn2_b64 s[52:53], s[52:53], exec
	s_orn2_b64 s[0:1], vcc, exec
                                        ; implicit-def: $vgpr22
	s_branch .LBB14_4
.LBB14_59:
	s_or_b64 exec, exec, s[24:25]
	s_and_b64 s[8:9], s[40:41], exec
.LBB14_60:
	s_or_b64 exec, exec, s[16:17]
	s_orn2_b64 s[10:11], s[8:9], exec
.LBB14_61:
	s_or_b64 exec, exec, s[6:7]
	s_and_b64 exec, exec, s[10:11]
	s_cbranch_execz .LBB14_63
; %bb.62:
	s_load_dwordx2 s[0:1], s[4:5], 0x60
	v_mov_b32_e32 v0, 0
	s_waitcnt lgkmcnt(0)
	global_store_dword v0, v22, s[0:1]
.LBB14_63:
	s_endpgm
	.section	.rodata,"a",@progbits
	.p2align	6, 0x0
	.amdhsa_kernel _ZN9rocsparseL25check_matrix_gebsr_deviceILj256EfllEEv20rocsparse_direction_T2_S2_T1_S2_S2_PKT0_PKS3_PKS2_SA_21rocsparse_index_base_22rocsparse_matrix_type_20rocsparse_fill_mode_23rocsparse_storage_mode_P22rocsparse_data_status_
		.amdhsa_group_segment_fixed_size 0
		.amdhsa_private_segment_fixed_size 0
		.amdhsa_kernarg_size 104
		.amdhsa_user_sgpr_count 6
		.amdhsa_user_sgpr_private_segment_buffer 1
		.amdhsa_user_sgpr_dispatch_ptr 0
		.amdhsa_user_sgpr_queue_ptr 0
		.amdhsa_user_sgpr_kernarg_segment_ptr 1
		.amdhsa_user_sgpr_dispatch_id 0
		.amdhsa_user_sgpr_flat_scratch_init 0
		.amdhsa_user_sgpr_kernarg_preload_length 0
		.amdhsa_user_sgpr_kernarg_preload_offset 0
		.amdhsa_user_sgpr_private_segment_size 0
		.amdhsa_uses_dynamic_stack 0
		.amdhsa_system_sgpr_private_segment_wavefront_offset 0
		.amdhsa_system_sgpr_workgroup_id_x 1
		.amdhsa_system_sgpr_workgroup_id_y 0
		.amdhsa_system_sgpr_workgroup_id_z 0
		.amdhsa_system_sgpr_workgroup_info 0
		.amdhsa_system_vgpr_workitem_id 0
		.amdhsa_next_free_vgpr 26
		.amdhsa_next_free_sgpr 85
		.amdhsa_accum_offset 28
		.amdhsa_reserve_vcc 1
		.amdhsa_reserve_flat_scratch 0
		.amdhsa_float_round_mode_32 0
		.amdhsa_float_round_mode_16_64 0
		.amdhsa_float_denorm_mode_32 3
		.amdhsa_float_denorm_mode_16_64 3
		.amdhsa_dx10_clamp 1
		.amdhsa_ieee_mode 1
		.amdhsa_fp16_overflow 0
		.amdhsa_tg_split 0
		.amdhsa_exception_fp_ieee_invalid_op 0
		.amdhsa_exception_fp_denorm_src 0
		.amdhsa_exception_fp_ieee_div_zero 0
		.amdhsa_exception_fp_ieee_overflow 0
		.amdhsa_exception_fp_ieee_underflow 0
		.amdhsa_exception_fp_ieee_inexact 0
		.amdhsa_exception_int_div_zero 0
	.end_amdhsa_kernel
	.section	.text._ZN9rocsparseL25check_matrix_gebsr_deviceILj256EfllEEv20rocsparse_direction_T2_S2_T1_S2_S2_PKT0_PKS3_PKS2_SA_21rocsparse_index_base_22rocsparse_matrix_type_20rocsparse_fill_mode_23rocsparse_storage_mode_P22rocsparse_data_status_,"axG",@progbits,_ZN9rocsparseL25check_matrix_gebsr_deviceILj256EfllEEv20rocsparse_direction_T2_S2_T1_S2_S2_PKT0_PKS3_PKS2_SA_21rocsparse_index_base_22rocsparse_matrix_type_20rocsparse_fill_mode_23rocsparse_storage_mode_P22rocsparse_data_status_,comdat
.Lfunc_end14:
	.size	_ZN9rocsparseL25check_matrix_gebsr_deviceILj256EfllEEv20rocsparse_direction_T2_S2_T1_S2_S2_PKT0_PKS3_PKS2_SA_21rocsparse_index_base_22rocsparse_matrix_type_20rocsparse_fill_mode_23rocsparse_storage_mode_P22rocsparse_data_status_, .Lfunc_end14-_ZN9rocsparseL25check_matrix_gebsr_deviceILj256EfllEEv20rocsparse_direction_T2_S2_T1_S2_S2_PKT0_PKS3_PKS2_SA_21rocsparse_index_base_22rocsparse_matrix_type_20rocsparse_fill_mode_23rocsparse_storage_mode_P22rocsparse_data_status_
                                        ; -- End function
	.section	.AMDGPU.csdata,"",@progbits
; Kernel info:
; codeLenInByte = 1796
; NumSgprs: 89
; NumVgprs: 26
; NumAgprs: 0
; TotalNumVgprs: 26
; ScratchSize: 0
; MemoryBound: 0
; FloatMode: 240
; IeeeMode: 1
; LDSByteSize: 0 bytes/workgroup (compile time only)
; SGPRBlocks: 11
; VGPRBlocks: 3
; NumSGPRsForWavesPerEU: 89
; NumVGPRsForWavesPerEU: 26
; AccumOffset: 28
; Occupancy: 8
; WaveLimiterHint : 0
; COMPUTE_PGM_RSRC2:SCRATCH_EN: 0
; COMPUTE_PGM_RSRC2:USER_SGPR: 6
; COMPUTE_PGM_RSRC2:TRAP_HANDLER: 0
; COMPUTE_PGM_RSRC2:TGID_X_EN: 1
; COMPUTE_PGM_RSRC2:TGID_Y_EN: 0
; COMPUTE_PGM_RSRC2:TGID_Z_EN: 0
; COMPUTE_PGM_RSRC2:TIDIG_COMP_CNT: 0
; COMPUTE_PGM_RSRC3_GFX90A:ACCUM_OFFSET: 6
; COMPUTE_PGM_RSRC3_GFX90A:TG_SPLIT: 0
	.section	.text._ZN9rocsparseL25check_matrix_gebsr_deviceILj256EdllEEv20rocsparse_direction_T2_S2_T1_S2_S2_PKT0_PKS3_PKS2_SA_21rocsparse_index_base_22rocsparse_matrix_type_20rocsparse_fill_mode_23rocsparse_storage_mode_P22rocsparse_data_status_,"axG",@progbits,_ZN9rocsparseL25check_matrix_gebsr_deviceILj256EdllEEv20rocsparse_direction_T2_S2_T1_S2_S2_PKT0_PKS3_PKS2_SA_21rocsparse_index_base_22rocsparse_matrix_type_20rocsparse_fill_mode_23rocsparse_storage_mode_P22rocsparse_data_status_,comdat
	.globl	_ZN9rocsparseL25check_matrix_gebsr_deviceILj256EdllEEv20rocsparse_direction_T2_S2_T1_S2_S2_PKT0_PKS3_PKS2_SA_21rocsparse_index_base_22rocsparse_matrix_type_20rocsparse_fill_mode_23rocsparse_storage_mode_P22rocsparse_data_status_ ; -- Begin function _ZN9rocsparseL25check_matrix_gebsr_deviceILj256EdllEEv20rocsparse_direction_T2_S2_T1_S2_S2_PKT0_PKS3_PKS2_SA_21rocsparse_index_base_22rocsparse_matrix_type_20rocsparse_fill_mode_23rocsparse_storage_mode_P22rocsparse_data_status_
	.p2align	8
	.type	_ZN9rocsparseL25check_matrix_gebsr_deviceILj256EdllEEv20rocsparse_direction_T2_S2_T1_S2_S2_PKT0_PKS3_PKS2_SA_21rocsparse_index_base_22rocsparse_matrix_type_20rocsparse_fill_mode_23rocsparse_storage_mode_P22rocsparse_data_status_,@function
_ZN9rocsparseL25check_matrix_gebsr_deviceILj256EdllEEv20rocsparse_direction_T2_S2_T1_S2_S2_PKT0_PKS3_PKS2_SA_21rocsparse_index_base_22rocsparse_matrix_type_20rocsparse_fill_mode_23rocsparse_storage_mode_P22rocsparse_data_status_: ; @_ZN9rocsparseL25check_matrix_gebsr_deviceILj256EdllEEv20rocsparse_direction_T2_S2_T1_S2_S2_PKT0_PKS3_PKS2_SA_21rocsparse_index_base_22rocsparse_matrix_type_20rocsparse_fill_mode_23rocsparse_storage_mode_P22rocsparse_data_status_
; %bb.0:
	s_load_dwordx4 s[16:19], s[4:5], 0x8
	v_lshl_or_b32 v4, s6, 8, v0
	v_mov_b32_e32 v5, 0
	s_waitcnt lgkmcnt(0)
	v_cmp_gt_i64_e32 vcc, s[16:17], v[4:5]
	s_and_saveexec_b64 s[0:1], vcc
	s_cbranch_execz .LBB15_63
; %bb.1:
	s_load_dwordx2 s[0:1], s[4:5], 0x38
	v_lshlrev_b64 v[0:1], 3, v[4:5]
	s_mov_b64 s[10:11], -1
	s_mov_b64 s[8:9], 0
	v_mov_b32_e32 v24, 3
	s_waitcnt lgkmcnt(0)
	v_mov_b32_e32 v2, s1
	v_add_co_u32_e32 v0, vcc, s0, v0
	v_addc_co_u32_e32 v1, vcc, v2, v1, vcc
	global_load_dwordx4 v[0:3], v[0:1], off
	s_load_dwordx2 s[0:1], s[0:1], 0x0
	s_waitcnt lgkmcnt(0)
	v_mov_b32_e32 v9, s1
	s_waitcnt vmcnt(0)
	v_subrev_co_u32_e32 v6, vcc, s0, v0
	v_subb_co_u32_e32 v7, vcc, v1, v9, vcc
	v_subrev_co_u32_e32 v8, vcc, s0, v2
	v_subb_co_u32_e32 v9, vcc, v3, v9, vcc
	v_cmp_lt_i64_e32 vcc, v[2:3], v[0:1]
	v_cmp_gt_i64_e64 s[2:3], 0, v[8:9]
	s_or_b64 s[2:3], s[2:3], vcc
	v_cmp_lt_i64_e64 s[0:1], -1, v[6:7]
	s_xor_b64 s[2:3], s[2:3], -1
	s_and_b64 s[0:1], s[0:1], s[2:3]
	s_and_saveexec_b64 s[6:7], s[0:1]
	s_cbranch_execz .LBB15_61
; %bb.2:
	v_cmp_lt_i64_e32 vcc, v[0:1], v[2:3]
	v_mov_b32_e32 v24, 3
	s_and_saveexec_b64 s[16:17], vcc
	s_cbranch_execz .LBB15_60
; %bb.3:
	s_load_dwordx8 s[8:15], s[4:5], 0x40
	s_load_dword s2, s[4:5], 0x0
	s_load_dwordx2 s[0:1], s[4:5], 0x30
	s_load_dwordx4 s[20:23], s[4:5], 0x20
	s_mov_b32 s33, 0
	s_waitcnt lgkmcnt(0)
	s_mov_b32 s84, s12
	s_cmp_lg_u32 s2, 0
	s_cselect_b64 s[26:27], -1, 0
	s_cmp_lg_u32 s13, 0
	s_cselect_b64 s[12:13], -1, 0
	;; [unrolled: 2-line block ×4, first 2 shown]
	s_add_u32 s85, s10, -8
	s_mul_i32 s2, s22, s21
	s_mul_hi_u32 s3, s22, s20
	s_addc_u32 s86, s11, -1
	s_add_i32 s2, s3, s2
	s_mul_i32 s3, s23, s20
	s_add_i32 s3, s2, s3
	s_mul_i32 s2, s22, s20
	v_mul_lo_u32 v2, s3, v6
	v_mul_lo_u32 v3, s2, v7
	v_mad_u64_u32 v[0:1], s[10:11], s2, v6, 0
	v_add3_u32 v1, v1, v3, v2
	v_lshlrev_b64 v[0:1], 3, v[0:1]
	v_mov_b32_e32 v2, s1
	v_add_co_u32_e32 v0, vcc, s0, v0
	s_mov_b32 s40, 0
	s_mov_b64 s[24:25], 0
	v_cmp_gt_i64_e64 s[28:29], s[22:23], 0
	v_addc_co_u32_e32 v1, vcc, v2, v1, vcc
	s_lshl_b64 s[10:11], s[2:3], 3
	s_lshl_b64 s[34:35], s[20:21], 3
	s_lshl_b64 s[36:37], s[22:23], 3
	v_mov_b32_e32 v22, s9
	v_mov_b32_e32 v23, s33
	v_cmp_gt_i64_e64 s[38:39], s[20:21], 0
	s_mov_b32 s41, 0x7ff00000
	v_pk_mov_b32 v[2:3], v[6:7], v[6:7] op_sel:[0,1]
                                        ; implicit-def: $sgpr42_sgpr43
                                        ; implicit-def: $sgpr44_sgpr45
                                        ; implicit-def: $sgpr46_sgpr47
	s_branch .LBB15_9
.LBB15_4:                               ;   in Loop: Header=BB15_9 Depth=1
	s_or_b64 exec, exec, s[2:3]
	s_andn2_b64 s[2:3], s[58:59], exec
	s_and_b64 s[54:55], s[54:55], exec
	s_or_b64 s[58:59], s[2:3], s[54:55]
	s_orn2_b64 s[0:1], s[0:1], exec
.LBB15_5:                               ;   in Loop: Header=BB15_9 Depth=1
	s_or_b64 exec, exec, s[60:61]
	s_andn2_b64 s[2:3], s[52:53], exec
	s_and_b64 s[52:53], s[58:59], exec
	s_or_b64 s[52:53], s[2:3], s[52:53]
	s_orn2_b64 s[2:3], s[0:1], exec
.LBB15_6:                               ;   in Loop: Header=BB15_9 Depth=1
	s_or_b64 exec, exec, s[56:57]
	s_orn2_b64 s[52:53], s[52:53], exec
	s_orn2_b64 s[0:1], s[2:3], exec
.LBB15_7:                               ;   in Loop: Header=BB15_9 Depth=1
	s_or_b64 exec, exec, s[50:51]
	s_andn2_b64 s[2:3], s[46:47], exec
	s_and_b64 s[46:47], s[52:53], exec
	s_or_b64 s[46:47], s[2:3], s[46:47]
	s_andn2_b64 s[2:3], s[44:45], exec
	s_and_b64 s[0:1], s[0:1], exec
	s_or_b64 s[44:45], s[2:3], s[0:1]
.LBB15_8:                               ;   in Loop: Header=BB15_9 Depth=1
	s_or_b64 exec, exec, s[48:49]
	s_and_b64 s[0:1], exec, s[44:45]
	s_or_b64 s[24:25], s[0:1], s[24:25]
	s_andn2_b64 s[0:1], s[42:43], exec
	s_and_b64 s[2:3], s[46:47], exec
	s_or_b64 s[42:43], s[0:1], s[2:3]
	s_andn2_b64 exec, exec, s[24:25]
	s_cbranch_execz .LBB15_59
.LBB15_9:                               ; =>This Loop Header: Depth=1
                                        ;     Child Loop BB15_34 Depth 2
                                        ;       Child Loop BB15_38 Depth 3
                                        ;     Child Loop BB15_17 Depth 2
                                        ;       Child Loop BB15_21 Depth 3
	v_lshlrev_b64 v[16:17], 3, v[2:3]
	v_add_co_u32_e32 v12, vcc, s8, v16
	v_addc_co_u32_e32 v13, vcc, v22, v17, vcc
	global_load_dwordx2 v[10:11], v[12:13], off
	v_mov_b32_e32 v24, 4
	s_or_b64 s[46:47], s[46:47], exec
	s_or_b64 s[44:45], s[44:45], exec
	s_waitcnt vmcnt(0)
	v_subrev_co_u32_e32 v14, vcc, s84, v10
	v_subb_co_u32_e32 v15, vcc, v11, v23, vcc
	v_cmp_lt_i64_e32 vcc, -1, v[14:15]
	v_cmp_gt_i64_e64 s[0:1], s[18:19], v[14:15]
	s_and_b64 s[0:1], vcc, s[0:1]
	s_and_saveexec_b64 s[48:49], s[0:1]
	s_cbranch_execz .LBB15_8
; %bb.10:                               ;   in Loop: Header=BB15_9 Depth=1
	v_cmp_le_i64_e64 s[54:55], v[2:3], v[6:7]
	v_cmp_gt_i64_e32 vcc, v[2:3], v[6:7]
	v_mov_b32_e32 v24, 4
	s_mov_b64 s[2:3], s[54:55]
	s_and_saveexec_b64 s[50:51], vcc
	s_cbranch_execz .LBB15_12
; %bb.11:                               ;   in Loop: Header=BB15_9 Depth=1
	v_mov_b32_e32 v18, s86
	v_add_co_u32_e32 v16, vcc, s85, v16
	v_addc_co_u32_e32 v17, vcc, v18, v17, vcc
	global_load_dwordx4 v[16:19], v[16:17], off
	v_mov_b32_e32 v24, 5
	s_waitcnt vmcnt(0)
	v_subrev_co_u32_e32 v20, vcc, s84, v16
	v_subb_co_u32_e32 v21, vcc, v17, v23, vcc
	v_cmp_lt_i64_e64 s[0:1], -1, v[20:21]
	v_cmp_gt_i64_e64 s[2:3], s[18:19], v[20:21]
	s_and_b64 s[0:1], s[0:1], s[2:3]
	v_cmp_ne_u64_e32 vcc, v[18:19], v[16:17]
	s_xor_b64 s[0:1], s[0:1], -1
	s_or_b64 s[0:1], vcc, s[0:1]
	s_andn2_b64 s[2:3], s[54:55], exec
	s_and_b64 s[0:1], s[0:1], exec
	s_or_b64 s[2:3], s[2:3], s[0:1]
.LBB15_12:                              ;   in Loop: Header=BB15_9 Depth=1
	s_or_b64 exec, exec, s[50:51]
	s_mov_b64 s[0:1], -1
	s_mov_b64 s[52:53], -1
	s_and_saveexec_b64 s[50:51], s[2:3]
	s_cbranch_execz .LBB15_7
; %bb.13:                               ;   in Loop: Header=BB15_9 Depth=1
	s_and_b64 vcc, exec, s[26:27]
	s_cbranch_vccz .LBB15_30
; %bb.14:                               ;   in Loop: Header=BB15_9 Depth=1
	s_and_b64 vcc, exec, s[28:29]
	s_cbranch_vccz .LBB15_29
; %bb.15:                               ;   in Loop: Header=BB15_9 Depth=1
	s_mov_b64 s[2:3], 0
	v_pk_mov_b32 v[16:17], v[0:1], v[0:1] op_sel:[0,1]
	s_mov_b64 s[58:59], 0
                                        ; implicit-def: $sgpr0_sgpr1
                                        ; implicit-def: $sgpr52_sgpr53
                                        ; implicit-def: $sgpr56_sgpr57
	s_branch .LBB15_17
.LBB15_16:                              ;   in Loop: Header=BB15_17 Depth=2
	s_or_b64 exec, exec, s[66:67]
	s_xor_b64 s[60:61], s[60:61], -1
	s_and_b64 s[62:63], exec, s[62:63]
	s_or_b64 s[2:3], s[62:63], s[2:3]
	s_andn2_b64 s[52:53], s[52:53], exec
	s_and_b64 s[62:63], s[56:57], exec
	s_andn2_b64 s[0:1], s[0:1], exec
	s_and_b64 s[60:61], s[60:61], exec
	s_or_b64 s[52:53], s[52:53], s[62:63]
	s_or_b64 s[0:1], s[0:1], s[60:61]
	s_andn2_b64 exec, exec, s[2:3]
	s_cbranch_execz .LBB15_28
.LBB15_17:                              ;   Parent Loop BB15_9 Depth=1
                                        ; =>  This Loop Header: Depth=2
                                        ;       Child Loop BB15_21 Depth 3
	s_andn2_b64 vcc, exec, s[38:39]
	s_mov_b64 s[62:63], -1
	s_cbranch_vccnz .LBB15_25
; %bb.18:                               ;   in Loop: Header=BB15_17 Depth=2
	s_mov_b64 s[66:67], 0
	v_pk_mov_b32 v[18:19], v[16:17], v[16:17] op_sel:[0,1]
	s_mov_b64 s[72:73], s[20:21]
                                        ; implicit-def: $sgpr64_sgpr65
                                        ; implicit-def: $sgpr60_sgpr61
                                        ; implicit-def: $sgpr68_sgpr69
                                        ; implicit-def: $sgpr70_sgpr71
	s_branch .LBB15_21
.LBB15_19:                              ;   in Loop: Header=BB15_21 Depth=3
	s_or_b64 exec, exec, s[80:81]
	s_andn2_b64 s[70:71], s[70:71], exec
	s_and_b64 s[80:81], s[82:83], exec
	s_andn2_b64 s[68:69], s[68:69], exec
	s_and_b64 s[78:79], s[78:79], exec
	v_mov_b32_e32 v24, 2
	s_or_b64 s[70:71], s[70:71], s[80:81]
	s_or_b64 s[68:69], s[68:69], s[78:79]
.LBB15_20:                              ;   in Loop: Header=BB15_21 Depth=3
	s_or_b64 exec, exec, s[76:77]
	s_xor_b64 s[76:77], s[70:71], -1
	s_and_b64 s[78:79], exec, s[68:69]
	s_or_b64 s[66:67], s[78:79], s[66:67]
	s_andn2_b64 s[60:61], s[60:61], exec
	s_and_b64 s[74:75], s[74:75], exec
	s_or_b64 s[60:61], s[60:61], s[74:75]
	s_andn2_b64 s[64:65], s[64:65], exec
	s_and_b64 s[74:75], s[76:77], exec
	s_or_b64 s[64:65], s[64:65], s[74:75]
	s_andn2_b64 exec, exec, s[66:67]
	s_cbranch_execz .LBB15_24
.LBB15_21:                              ;   Parent Loop BB15_9 Depth=1
                                        ;     Parent Loop BB15_17 Depth=2
                                        ; =>    This Inner Loop Header: Depth=3
	global_load_dwordx2 v[20:21], v[18:19], off
	s_mov_b64 s[74:75], -1
	v_mov_b32_e32 v24, 1
	s_or_b64 s[70:71], s[70:71], exec
	s_or_b64 s[68:69], s[68:69], exec
	s_waitcnt vmcnt(0)
	v_cmp_neq_f64_e32 vcc, s[40:41], v[20:21]
	s_and_saveexec_b64 s[76:77], vcc
	s_xor_b64 s[76:77], exec, s[76:77]
	s_cbranch_execz .LBB15_20
; %bb.22:                               ;   in Loop: Header=BB15_21 Depth=3
	v_cmp_o_f64_e32 vcc, v[20:21], v[20:21]
	s_mov_b64 s[78:79], -1
	s_mov_b64 s[82:83], -1
	s_and_saveexec_b64 s[80:81], vcc
	s_cbranch_execz .LBB15_19
; %bb.23:                               ;   in Loop: Header=BB15_21 Depth=3
	s_add_u32 s72, s72, -1
	s_addc_u32 s73, s73, -1
	s_cmp_eq_u64 s[72:73], 0
	v_add_co_u32_e32 v18, vcc, 8, v18
	s_cselect_b64 s[78:79], -1, 0
	v_addc_co_u32_e32 v19, vcc, 0, v19, vcc
	s_xor_b64 s[82:83], exec, -1
	s_orn2_b64 s[78:79], s[78:79], exec
	s_branch .LBB15_19
.LBB15_24:                              ;   in Loop: Header=BB15_17 Depth=2
	s_or_b64 exec, exec, s[66:67]
	s_branch .LBB15_26
.LBB15_25:                              ;   in Loop: Header=BB15_17 Depth=2
	s_mov_b64 s[64:65], -1
                                        ; implicit-def: $sgpr60_sgpr61
                                        ; implicit-def: $vgpr24
.LBB15_26:                              ;   in Loop: Header=BB15_17 Depth=2
	s_andn2_b64 s[56:57], s[56:57], exec
	s_and_b64 s[66:67], s[60:61], exec
	s_or_b64 s[56:57], s[56:57], s[66:67]
	s_and_saveexec_b64 s[66:67], s[64:65]
	s_cbranch_execz .LBB15_16
; %bb.27:                               ;   in Loop: Header=BB15_17 Depth=2
	s_add_u32 s58, s58, 1
	s_addc_u32 s59, s59, 0
	s_cmp_eq_u64 s[58:59], s[22:23]
	v_mov_b32_e32 v18, s35
	v_add_co_u32_e32 v16, vcc, s34, v16
	s_cselect_b64 s[62:63], -1, 0
	v_addc_co_u32_e32 v17, vcc, v17, v18, vcc
	s_andn2_b64 s[60:61], s[60:61], exec
	s_andn2_b64 s[56:57], s[56:57], exec
	s_orn2_b64 s[62:63], s[62:63], exec
                                        ; implicit-def: $vgpr24
	s_branch .LBB15_16
.LBB15_28:                              ;   in Loop: Header=BB15_9 Depth=1
	s_or_b64 exec, exec, s[2:3]
.LBB15_29:                              ;   in Loop: Header=BB15_9 Depth=1
	s_branch .LBB15_46
.LBB15_30:                              ;   in Loop: Header=BB15_9 Depth=1
	s_mov_b64 s[0:1], 0
	s_cbranch_execz .LBB15_46
; %bb.31:                               ;   in Loop: Header=BB15_9 Depth=1
	s_and_b64 vcc, exec, s[38:39]
	s_cbranch_vccz .LBB15_50
; %bb.32:                               ;   in Loop: Header=BB15_9 Depth=1
	s_mov_b64 s[2:3], 0
	v_pk_mov_b32 v[16:17], v[0:1], v[0:1] op_sel:[0,1]
	s_mov_b64 s[58:59], 0
                                        ; implicit-def: $sgpr0_sgpr1
                                        ; implicit-def: $sgpr52_sgpr53
                                        ; implicit-def: $sgpr56_sgpr57
	s_branch .LBB15_34
.LBB15_33:                              ;   in Loop: Header=BB15_34 Depth=2
	s_or_b64 exec, exec, s[66:67]
	s_xor_b64 s[60:61], s[60:61], -1
	s_and_b64 s[62:63], exec, s[62:63]
	s_or_b64 s[2:3], s[62:63], s[2:3]
	s_andn2_b64 s[52:53], s[52:53], exec
	s_and_b64 s[62:63], s[56:57], exec
	s_andn2_b64 s[0:1], s[0:1], exec
	s_and_b64 s[60:61], s[60:61], exec
	s_or_b64 s[52:53], s[52:53], s[62:63]
	s_or_b64 s[0:1], s[0:1], s[60:61]
	s_andn2_b64 exec, exec, s[2:3]
	s_cbranch_execz .LBB15_45
.LBB15_34:                              ;   Parent Loop BB15_9 Depth=1
                                        ; =>  This Loop Header: Depth=2
                                        ;       Child Loop BB15_38 Depth 3
	s_andn2_b64 vcc, exec, s[28:29]
	s_mov_b64 s[62:63], -1
	s_cbranch_vccnz .LBB15_42
; %bb.35:                               ;   in Loop: Header=BB15_34 Depth=2
	s_mov_b64 s[66:67], 0
	v_pk_mov_b32 v[18:19], v[16:17], v[16:17] op_sel:[0,1]
	s_mov_b64 s[72:73], s[22:23]
                                        ; implicit-def: $sgpr64_sgpr65
                                        ; implicit-def: $sgpr60_sgpr61
                                        ; implicit-def: $sgpr68_sgpr69
                                        ; implicit-def: $sgpr70_sgpr71
	s_branch .LBB15_38
.LBB15_36:                              ;   in Loop: Header=BB15_38 Depth=3
	s_or_b64 exec, exec, s[80:81]
	s_andn2_b64 s[70:71], s[70:71], exec
	s_and_b64 s[80:81], s[82:83], exec
	s_andn2_b64 s[68:69], s[68:69], exec
	s_and_b64 s[78:79], s[78:79], exec
	v_mov_b32_e32 v24, 2
	s_or_b64 s[70:71], s[70:71], s[80:81]
	s_or_b64 s[68:69], s[68:69], s[78:79]
.LBB15_37:                              ;   in Loop: Header=BB15_38 Depth=3
	s_or_b64 exec, exec, s[76:77]
	s_xor_b64 s[76:77], s[70:71], -1
	s_and_b64 s[78:79], exec, s[68:69]
	s_or_b64 s[66:67], s[78:79], s[66:67]
	s_andn2_b64 s[60:61], s[60:61], exec
	s_and_b64 s[74:75], s[74:75], exec
	s_or_b64 s[60:61], s[60:61], s[74:75]
	s_andn2_b64 s[64:65], s[64:65], exec
	s_and_b64 s[74:75], s[76:77], exec
	s_or_b64 s[64:65], s[64:65], s[74:75]
	s_andn2_b64 exec, exec, s[66:67]
	s_cbranch_execz .LBB15_41
.LBB15_38:                              ;   Parent Loop BB15_9 Depth=1
                                        ;     Parent Loop BB15_34 Depth=2
                                        ; =>    This Inner Loop Header: Depth=3
	global_load_dwordx2 v[20:21], v[18:19], off
	s_mov_b64 s[74:75], -1
	v_mov_b32_e32 v24, 1
	s_or_b64 s[70:71], s[70:71], exec
	s_or_b64 s[68:69], s[68:69], exec
	s_waitcnt vmcnt(0)
	v_cmp_neq_f64_e32 vcc, s[40:41], v[20:21]
	s_and_saveexec_b64 s[76:77], vcc
	s_xor_b64 s[76:77], exec, s[76:77]
	s_cbranch_execz .LBB15_37
; %bb.39:                               ;   in Loop: Header=BB15_38 Depth=3
	v_cmp_o_f64_e32 vcc, v[20:21], v[20:21]
	s_mov_b64 s[78:79], -1
	s_mov_b64 s[82:83], -1
	s_and_saveexec_b64 s[80:81], vcc
	s_cbranch_execz .LBB15_36
; %bb.40:                               ;   in Loop: Header=BB15_38 Depth=3
	s_add_u32 s72, s72, -1
	s_addc_u32 s73, s73, -1
	s_cmp_eq_u64 s[72:73], 0
	v_add_co_u32_e32 v18, vcc, 8, v18
	s_cselect_b64 s[78:79], -1, 0
	v_addc_co_u32_e32 v19, vcc, 0, v19, vcc
	s_xor_b64 s[82:83], exec, -1
	s_orn2_b64 s[78:79], s[78:79], exec
	s_branch .LBB15_36
.LBB15_41:                              ;   in Loop: Header=BB15_34 Depth=2
	s_or_b64 exec, exec, s[66:67]
	s_branch .LBB15_43
.LBB15_42:                              ;   in Loop: Header=BB15_34 Depth=2
	s_mov_b64 s[64:65], -1
                                        ; implicit-def: $sgpr60_sgpr61
                                        ; implicit-def: $vgpr24
.LBB15_43:                              ;   in Loop: Header=BB15_34 Depth=2
	s_andn2_b64 s[56:57], s[56:57], exec
	s_and_b64 s[66:67], s[60:61], exec
	s_or_b64 s[56:57], s[56:57], s[66:67]
	s_and_saveexec_b64 s[66:67], s[64:65]
	s_cbranch_execz .LBB15_33
; %bb.44:                               ;   in Loop: Header=BB15_34 Depth=2
	s_add_u32 s58, s58, 1
	s_addc_u32 s59, s59, 0
	s_cmp_eq_u64 s[58:59], s[20:21]
	v_mov_b32_e32 v18, s37
	v_add_co_u32_e32 v16, vcc, s36, v16
	s_cselect_b64 s[62:63], -1, 0
	v_addc_co_u32_e32 v17, vcc, v17, v18, vcc
	s_andn2_b64 s[60:61], s[60:61], exec
	s_andn2_b64 s[56:57], s[56:57], exec
	s_orn2_b64 s[62:63], s[62:63], exec
                                        ; implicit-def: $vgpr24
	s_branch .LBB15_33
.LBB15_45:                              ;   in Loop: Header=BB15_9 Depth=1
	s_or_b64 exec, exec, s[2:3]
.LBB15_46:                              ;   in Loop: Header=BB15_9 Depth=1
	s_mov_b64 s[2:3], -1
	s_and_saveexec_b64 s[56:57], s[0:1]
	s_cbranch_execz .LBB15_6
.LBB15_47:                              ;   in Loop: Header=BB15_9 Depth=1
	s_mov_b64 s[0:1], -1
	s_and_b64 vcc, exec, s[12:13]
	s_cbranch_vccz .LBB15_51
; %bb.48:                               ;   in Loop: Header=BB15_9 Depth=1
	s_and_b64 vcc, exec, s[30:31]
	s_cbranch_vccz .LBB15_52
; %bb.49:                               ;   in Loop: Header=BB15_9 Depth=1
	v_cmp_ge_i64_e32 vcc, v[14:15], v[4:5]
	v_mov_b32_e32 v24, 7
	s_or_b64 s[58:59], s[52:53], exec
	s_and_b64 s[2:3], vcc, exec
	s_cbranch_execz .LBB15_53
	s_branch .LBB15_54
.LBB15_50:                              ;   in Loop: Header=BB15_9 Depth=1
	s_mov_b64 s[0:1], -1
	s_mov_b64 s[2:3], -1
	s_and_saveexec_b64 s[56:57], s[0:1]
	s_cbranch_execz .LBB15_6
	s_branch .LBB15_47
.LBB15_51:                              ;   in Loop: Header=BB15_9 Depth=1
	s_mov_b64 s[58:59], s[52:53]
	s_branch .LBB15_54
.LBB15_52:                              ;   in Loop: Header=BB15_9 Depth=1
	s_mov_b64 s[2:3], 0
	s_mov_b64 s[58:59], s[52:53]
.LBB15_53:                              ;   in Loop: Header=BB15_9 Depth=1
	v_cmp_le_i64_e32 vcc, v[14:15], v[4:5]
	s_andn2_b64 s[2:3], s[2:3], exec
	s_and_b64 s[60:61], vcc, exec
	v_mov_b32_e32 v24, 7
	s_or_b64 s[58:59], s[58:59], exec
	s_or_b64 s[2:3], s[2:3], s[60:61]
.LBB15_54:                              ;   in Loop: Header=BB15_9 Depth=1
	s_and_saveexec_b64 s[60:61], s[2:3]
	s_cbranch_execz .LBB15_5
; %bb.55:                               ;   in Loop: Header=BB15_9 Depth=1
	s_or_b64 s[62:63], s[14:15], s[54:55]
	s_xor_b64 s[0:1], s[62:63], -1
	s_mov_b64 s[54:55], s[58:59]
	s_and_saveexec_b64 s[64:65], s[0:1]
	s_cbranch_execz .LBB15_57
; %bb.56:                               ;   in Loop: Header=BB15_9 Depth=1
	global_load_dwordx2 v[12:13], v[12:13], off offset:-8
	v_mov_b32_e32 v15, s33
	v_mov_b32_e32 v24, 6
	s_or_b64 s[54:55], s[58:59], exec
	s_waitcnt vmcnt(0)
	v_subrev_co_u32_e32 v14, vcc, s84, v12
	v_subb_co_u32_e32 v15, vcc, v13, v15, vcc
	v_cmp_lt_i64_e64 s[0:1], -1, v[14:15]
	v_cmp_gt_i64_e64 s[2:3], s[18:19], v[14:15]
	s_and_b64 s[0:1], s[0:1], s[2:3]
	v_cmp_gt_i64_e32 vcc, v[10:11], v[12:13]
	s_xor_b64 s[0:1], s[0:1], -1
	s_or_b64 s[0:1], vcc, s[0:1]
	s_andn2_b64 s[2:3], s[62:63], exec
	s_and_b64 s[0:1], s[0:1], exec
	s_or_b64 s[62:63], s[2:3], s[0:1]
.LBB15_57:                              ;   in Loop: Header=BB15_9 Depth=1
	s_or_b64 exec, exec, s[64:65]
	s_mov_b64 s[0:1], -1
	s_and_saveexec_b64 s[2:3], s[62:63]
	s_cbranch_execz .LBB15_4
; %bb.58:                               ;   in Loop: Header=BB15_9 Depth=1
	v_add_co_u32_e32 v2, vcc, 1, v2
	v_addc_co_u32_e32 v3, vcc, 0, v3, vcc
	v_mov_b32_e32 v10, s11
	v_add_co_u32_e32 v0, vcc, s10, v0
	v_addc_co_u32_e32 v1, vcc, v1, v10, vcc
	v_cmp_ge_i64_e32 vcc, v[2:3], v[8:9]
	s_andn2_b64 s[54:55], s[54:55], exec
	s_orn2_b64 s[0:1], vcc, exec
                                        ; implicit-def: $vgpr24
	s_branch .LBB15_4
.LBB15_59:
	s_or_b64 exec, exec, s[24:25]
	s_and_b64 s[8:9], s[42:43], exec
.LBB15_60:
	s_or_b64 exec, exec, s[16:17]
	s_orn2_b64 s[10:11], s[8:9], exec
.LBB15_61:
	s_or_b64 exec, exec, s[6:7]
	s_and_b64 exec, exec, s[10:11]
	s_cbranch_execz .LBB15_63
; %bb.62:
	s_load_dwordx2 s[0:1], s[4:5], 0x60
	v_mov_b32_e32 v0, 0
	s_waitcnt lgkmcnt(0)
	global_store_dword v0, v24, s[0:1]
.LBB15_63:
	s_endpgm
	.section	.rodata,"a",@progbits
	.p2align	6, 0x0
	.amdhsa_kernel _ZN9rocsparseL25check_matrix_gebsr_deviceILj256EdllEEv20rocsparse_direction_T2_S2_T1_S2_S2_PKT0_PKS3_PKS2_SA_21rocsparse_index_base_22rocsparse_matrix_type_20rocsparse_fill_mode_23rocsparse_storage_mode_P22rocsparse_data_status_
		.amdhsa_group_segment_fixed_size 0
		.amdhsa_private_segment_fixed_size 0
		.amdhsa_kernarg_size 104
		.amdhsa_user_sgpr_count 6
		.amdhsa_user_sgpr_private_segment_buffer 1
		.amdhsa_user_sgpr_dispatch_ptr 0
		.amdhsa_user_sgpr_queue_ptr 0
		.amdhsa_user_sgpr_kernarg_segment_ptr 1
		.amdhsa_user_sgpr_dispatch_id 0
		.amdhsa_user_sgpr_flat_scratch_init 0
		.amdhsa_user_sgpr_kernarg_preload_length 0
		.amdhsa_user_sgpr_kernarg_preload_offset 0
		.amdhsa_user_sgpr_private_segment_size 0
		.amdhsa_uses_dynamic_stack 0
		.amdhsa_system_sgpr_private_segment_wavefront_offset 0
		.amdhsa_system_sgpr_workgroup_id_x 1
		.amdhsa_system_sgpr_workgroup_id_y 0
		.amdhsa_system_sgpr_workgroup_id_z 0
		.amdhsa_system_sgpr_workgroup_info 0
		.amdhsa_system_vgpr_workitem_id 0
		.amdhsa_next_free_vgpr 25
		.amdhsa_next_free_sgpr 87
		.amdhsa_accum_offset 28
		.amdhsa_reserve_vcc 1
		.amdhsa_reserve_flat_scratch 0
		.amdhsa_float_round_mode_32 0
		.amdhsa_float_round_mode_16_64 0
		.amdhsa_float_denorm_mode_32 3
		.amdhsa_float_denorm_mode_16_64 3
		.amdhsa_dx10_clamp 1
		.amdhsa_ieee_mode 1
		.amdhsa_fp16_overflow 0
		.amdhsa_tg_split 0
		.amdhsa_exception_fp_ieee_invalid_op 0
		.amdhsa_exception_fp_denorm_src 0
		.amdhsa_exception_fp_ieee_div_zero 0
		.amdhsa_exception_fp_ieee_overflow 0
		.amdhsa_exception_fp_ieee_underflow 0
		.amdhsa_exception_fp_ieee_inexact 0
		.amdhsa_exception_int_div_zero 0
	.end_amdhsa_kernel
	.section	.text._ZN9rocsparseL25check_matrix_gebsr_deviceILj256EdllEEv20rocsparse_direction_T2_S2_T1_S2_S2_PKT0_PKS3_PKS2_SA_21rocsparse_index_base_22rocsparse_matrix_type_20rocsparse_fill_mode_23rocsparse_storage_mode_P22rocsparse_data_status_,"axG",@progbits,_ZN9rocsparseL25check_matrix_gebsr_deviceILj256EdllEEv20rocsparse_direction_T2_S2_T1_S2_S2_PKT0_PKS3_PKS2_SA_21rocsparse_index_base_22rocsparse_matrix_type_20rocsparse_fill_mode_23rocsparse_storage_mode_P22rocsparse_data_status_,comdat
.Lfunc_end15:
	.size	_ZN9rocsparseL25check_matrix_gebsr_deviceILj256EdllEEv20rocsparse_direction_T2_S2_T1_S2_S2_PKT0_PKS3_PKS2_SA_21rocsparse_index_base_22rocsparse_matrix_type_20rocsparse_fill_mode_23rocsparse_storage_mode_P22rocsparse_data_status_, .Lfunc_end15-_ZN9rocsparseL25check_matrix_gebsr_deviceILj256EdllEEv20rocsparse_direction_T2_S2_T1_S2_S2_PKT0_PKS3_PKS2_SA_21rocsparse_index_base_22rocsparse_matrix_type_20rocsparse_fill_mode_23rocsparse_storage_mode_P22rocsparse_data_status_
                                        ; -- End function
	.section	.AMDGPU.csdata,"",@progbits
; Kernel info:
; codeLenInByte = 1800
; NumSgprs: 91
; NumVgprs: 25
; NumAgprs: 0
; TotalNumVgprs: 25
; ScratchSize: 0
; MemoryBound: 0
; FloatMode: 240
; IeeeMode: 1
; LDSByteSize: 0 bytes/workgroup (compile time only)
; SGPRBlocks: 11
; VGPRBlocks: 3
; NumSGPRsForWavesPerEU: 91
; NumVGPRsForWavesPerEU: 25
; AccumOffset: 28
; Occupancy: 8
; WaveLimiterHint : 0
; COMPUTE_PGM_RSRC2:SCRATCH_EN: 0
; COMPUTE_PGM_RSRC2:USER_SGPR: 6
; COMPUTE_PGM_RSRC2:TRAP_HANDLER: 0
; COMPUTE_PGM_RSRC2:TGID_X_EN: 1
; COMPUTE_PGM_RSRC2:TGID_Y_EN: 0
; COMPUTE_PGM_RSRC2:TGID_Z_EN: 0
; COMPUTE_PGM_RSRC2:TIDIG_COMP_CNT: 0
; COMPUTE_PGM_RSRC3_GFX90A:ACCUM_OFFSET: 6
; COMPUTE_PGM_RSRC3_GFX90A:TG_SPLIT: 0
	.section	.text._ZN9rocsparseL25check_matrix_gebsr_deviceILj256E21rocsparse_complex_numIfEllEEv20rocsparse_direction_T2_S4_T1_S4_S4_PKT0_PKS5_PKS4_SC_21rocsparse_index_base_22rocsparse_matrix_type_20rocsparse_fill_mode_23rocsparse_storage_mode_P22rocsparse_data_status_,"axG",@progbits,_ZN9rocsparseL25check_matrix_gebsr_deviceILj256E21rocsparse_complex_numIfEllEEv20rocsparse_direction_T2_S4_T1_S4_S4_PKT0_PKS5_PKS4_SC_21rocsparse_index_base_22rocsparse_matrix_type_20rocsparse_fill_mode_23rocsparse_storage_mode_P22rocsparse_data_status_,comdat
	.globl	_ZN9rocsparseL25check_matrix_gebsr_deviceILj256E21rocsparse_complex_numIfEllEEv20rocsparse_direction_T2_S4_T1_S4_S4_PKT0_PKS5_PKS4_SC_21rocsparse_index_base_22rocsparse_matrix_type_20rocsparse_fill_mode_23rocsparse_storage_mode_P22rocsparse_data_status_ ; -- Begin function _ZN9rocsparseL25check_matrix_gebsr_deviceILj256E21rocsparse_complex_numIfEllEEv20rocsparse_direction_T2_S4_T1_S4_S4_PKT0_PKS5_PKS4_SC_21rocsparse_index_base_22rocsparse_matrix_type_20rocsparse_fill_mode_23rocsparse_storage_mode_P22rocsparse_data_status_
	.p2align	8
	.type	_ZN9rocsparseL25check_matrix_gebsr_deviceILj256E21rocsparse_complex_numIfEllEEv20rocsparse_direction_T2_S4_T1_S4_S4_PKT0_PKS5_PKS4_SC_21rocsparse_index_base_22rocsparse_matrix_type_20rocsparse_fill_mode_23rocsparse_storage_mode_P22rocsparse_data_status_,@function
_ZN9rocsparseL25check_matrix_gebsr_deviceILj256E21rocsparse_complex_numIfEllEEv20rocsparse_direction_T2_S4_T1_S4_S4_PKT0_PKS5_PKS4_SC_21rocsparse_index_base_22rocsparse_matrix_type_20rocsparse_fill_mode_23rocsparse_storage_mode_P22rocsparse_data_status_: ; @_ZN9rocsparseL25check_matrix_gebsr_deviceILj256E21rocsparse_complex_numIfEllEEv20rocsparse_direction_T2_S4_T1_S4_S4_PKT0_PKS5_PKS4_SC_21rocsparse_index_base_22rocsparse_matrix_type_20rocsparse_fill_mode_23rocsparse_storage_mode_P22rocsparse_data_status_
; %bb.0:
	s_load_dwordx4 s[16:19], s[4:5], 0x8
	v_lshl_or_b32 v4, s6, 8, v0
	v_mov_b32_e32 v5, 0
	s_waitcnt lgkmcnt(0)
	v_cmp_gt_i64_e32 vcc, s[16:17], v[4:5]
	s_and_saveexec_b64 s[0:1], vcc
	s_cbranch_execz .LBB16_63
; %bb.1:
	s_load_dwordx2 s[0:1], s[4:5], 0x38
	v_lshlrev_b64 v[0:1], 3, v[4:5]
	s_mov_b64 s[10:11], -1
	s_mov_b64 s[8:9], 0
	v_mov_b32_e32 v24, 3
	s_waitcnt lgkmcnt(0)
	v_mov_b32_e32 v2, s1
	v_add_co_u32_e32 v0, vcc, s0, v0
	v_addc_co_u32_e32 v1, vcc, v2, v1, vcc
	global_load_dwordx4 v[0:3], v[0:1], off
	s_load_dwordx2 s[0:1], s[0:1], 0x0
	s_waitcnt lgkmcnt(0)
	v_mov_b32_e32 v9, s1
	s_waitcnt vmcnt(0)
	v_subrev_co_u32_e32 v6, vcc, s0, v0
	v_subb_co_u32_e32 v7, vcc, v1, v9, vcc
	v_subrev_co_u32_e32 v8, vcc, s0, v2
	v_subb_co_u32_e32 v9, vcc, v3, v9, vcc
	v_cmp_lt_i64_e32 vcc, v[2:3], v[0:1]
	v_cmp_gt_i64_e64 s[2:3], 0, v[8:9]
	s_or_b64 s[2:3], s[2:3], vcc
	v_cmp_lt_i64_e64 s[0:1], -1, v[6:7]
	s_xor_b64 s[2:3], s[2:3], -1
	s_and_b64 s[0:1], s[0:1], s[2:3]
	s_and_saveexec_b64 s[6:7], s[0:1]
	s_cbranch_execz .LBB16_61
; %bb.2:
	v_cmp_lt_i64_e32 vcc, v[0:1], v[2:3]
	v_mov_b32_e32 v24, 3
	s_and_saveexec_b64 s[16:17], vcc
	s_cbranch_execz .LBB16_60
; %bb.3:
	s_load_dwordx8 s[8:15], s[4:5], 0x40
	s_load_dword s2, s[4:5], 0x0
	s_load_dwordx2 s[0:1], s[4:5], 0x30
	s_load_dwordx4 s[20:23], s[4:5], 0x20
	s_mov_b32 s33, 0
	s_waitcnt lgkmcnt(0)
	s_mov_b32 s82, s12
	s_cmp_lg_u32 s2, 0
	s_cselect_b64 s[26:27], -1, 0
	s_cmp_lg_u32 s13, 0
	s_cselect_b64 s[12:13], -1, 0
	;; [unrolled: 2-line block ×4, first 2 shown]
	s_add_u32 s83, s10, -8
	s_mul_i32 s2, s22, s21
	s_mul_hi_u32 s3, s22, s20
	s_addc_u32 s84, s11, -1
	s_add_i32 s2, s3, s2
	s_mul_i32 s3, s23, s20
	s_add_i32 s3, s2, s3
	s_mul_i32 s2, s22, s20
	v_mul_lo_u32 v2, s3, v6
	v_mul_lo_u32 v3, s2, v7
	v_mad_u64_u32 v[0:1], s[10:11], s2, v6, 0
	v_add3_u32 v1, v1, v3, v2
	v_lshlrev_b64 v[0:1], 3, v[0:1]
	v_mov_b32_e32 v2, s1
	v_add_co_u32_e32 v0, vcc, s0, v0
	v_addc_co_u32_e32 v1, vcc, v1, v2, vcc
	v_add_co_u32_e32 v0, vcc, 4, v0
	s_mov_b64 s[24:25], 0
	v_cmp_gt_i64_e64 s[28:29], s[22:23], 0
	v_addc_co_u32_e32 v1, vcc, 0, v1, vcc
	s_lshl_b64 s[10:11], s[2:3], 3
	s_lshl_b64 s[34:35], s[20:21], 3
	;; [unrolled: 1-line block ×3, first 2 shown]
	v_mov_b32_e32 v22, s9
	v_mov_b32_e32 v23, s33
	v_cmp_gt_i64_e64 s[38:39], s[20:21], 0
	s_mov_b32 s9, 0x7f800000
	v_pk_mov_b32 v[2:3], v[6:7], v[6:7] op_sel:[0,1]
                                        ; implicit-def: $sgpr40_sgpr41
                                        ; implicit-def: $sgpr42_sgpr43
                                        ; implicit-def: $sgpr44_sgpr45
	s_branch .LBB16_9
.LBB16_4:                               ;   in Loop: Header=BB16_9 Depth=1
	s_or_b64 exec, exec, s[2:3]
	s_andn2_b64 s[2:3], s[56:57], exec
	s_and_b64 s[52:53], s[52:53], exec
	s_or_b64 s[56:57], s[2:3], s[52:53]
	s_orn2_b64 s[0:1], s[0:1], exec
.LBB16_5:                               ;   in Loop: Header=BB16_9 Depth=1
	s_or_b64 exec, exec, s[58:59]
	s_andn2_b64 s[2:3], s[50:51], exec
	s_and_b64 s[50:51], s[56:57], exec
	s_or_b64 s[50:51], s[2:3], s[50:51]
	s_orn2_b64 s[0:1], s[0:1], exec
.LBB16_6:                               ;   in Loop: Header=BB16_9 Depth=1
	s_or_b64 exec, exec, s[54:55]
	s_orn2_b64 s[2:3], s[50:51], exec
	s_orn2_b64 s[0:1], s[0:1], exec
.LBB16_7:                               ;   in Loop: Header=BB16_9 Depth=1
	s_or_b64 exec, exec, s[48:49]
	s_andn2_b64 s[44:45], s[44:45], exec
	s_and_b64 s[2:3], s[2:3], exec
	s_or_b64 s[44:45], s[44:45], s[2:3]
	s_andn2_b64 s[2:3], s[42:43], exec
	s_and_b64 s[0:1], s[0:1], exec
	s_or_b64 s[42:43], s[2:3], s[0:1]
.LBB16_8:                               ;   in Loop: Header=BB16_9 Depth=1
	s_or_b64 exec, exec, s[46:47]
	s_and_b64 s[0:1], exec, s[42:43]
	s_or_b64 s[24:25], s[0:1], s[24:25]
	s_andn2_b64 s[0:1], s[40:41], exec
	s_and_b64 s[2:3], s[44:45], exec
	s_or_b64 s[40:41], s[0:1], s[2:3]
	s_andn2_b64 exec, exec, s[24:25]
	s_cbranch_execz .LBB16_59
.LBB16_9:                               ; =>This Loop Header: Depth=1
                                        ;     Child Loop BB16_34 Depth 2
                                        ;       Child Loop BB16_38 Depth 3
                                        ;     Child Loop BB16_17 Depth 2
                                        ;       Child Loop BB16_21 Depth 3
	v_lshlrev_b64 v[16:17], 3, v[2:3]
	v_add_co_u32_e32 v12, vcc, s8, v16
	v_addc_co_u32_e32 v13, vcc, v22, v17, vcc
	global_load_dwordx2 v[10:11], v[12:13], off
	v_mov_b32_e32 v24, 4
	s_or_b64 s[44:45], s[44:45], exec
	s_or_b64 s[42:43], s[42:43], exec
	s_waitcnt vmcnt(0)
	v_subrev_co_u32_e32 v14, vcc, s82, v10
	v_subb_co_u32_e32 v15, vcc, v11, v23, vcc
	v_cmp_lt_i64_e32 vcc, -1, v[14:15]
	v_cmp_gt_i64_e64 s[0:1], s[18:19], v[14:15]
	s_and_b64 s[0:1], vcc, s[0:1]
	s_and_saveexec_b64 s[46:47], s[0:1]
	s_cbranch_execz .LBB16_8
; %bb.10:                               ;   in Loop: Header=BB16_9 Depth=1
	v_cmp_le_i64_e64 s[52:53], v[2:3], v[6:7]
	v_cmp_gt_i64_e32 vcc, v[2:3], v[6:7]
	v_mov_b32_e32 v24, 4
	s_mov_b64 s[50:51], s[52:53]
	s_and_saveexec_b64 s[48:49], vcc
	s_cbranch_execz .LBB16_12
; %bb.11:                               ;   in Loop: Header=BB16_9 Depth=1
	v_mov_b32_e32 v18, s84
	v_add_co_u32_e32 v16, vcc, s83, v16
	v_addc_co_u32_e32 v17, vcc, v18, v17, vcc
	global_load_dwordx4 v[16:19], v[16:17], off
	v_mov_b32_e32 v24, 5
	s_waitcnt vmcnt(0)
	v_subrev_co_u32_e32 v20, vcc, s82, v16
	v_subb_co_u32_e32 v21, vcc, v17, v23, vcc
	v_cmp_lt_i64_e64 s[0:1], -1, v[20:21]
	v_cmp_gt_i64_e64 s[2:3], s[18:19], v[20:21]
	s_and_b64 s[0:1], s[0:1], s[2:3]
	v_cmp_ne_u64_e32 vcc, v[18:19], v[16:17]
	s_xor_b64 s[0:1], s[0:1], -1
	s_or_b64 s[0:1], vcc, s[0:1]
	s_andn2_b64 s[2:3], s[52:53], exec
	s_and_b64 s[0:1], s[0:1], exec
	s_or_b64 s[50:51], s[2:3], s[0:1]
.LBB16_12:                              ;   in Loop: Header=BB16_9 Depth=1
	s_or_b64 exec, exec, s[48:49]
	s_mov_b64 s[0:1], -1
	s_mov_b64 s[2:3], -1
	s_and_saveexec_b64 s[48:49], s[50:51]
	s_cbranch_execz .LBB16_7
; %bb.13:                               ;   in Loop: Header=BB16_9 Depth=1
	s_and_b64 vcc, exec, s[26:27]
	s_cbranch_vccz .LBB16_29
; %bb.14:                               ;   in Loop: Header=BB16_9 Depth=1
	s_and_b64 vcc, exec, s[28:29]
	s_cbranch_vccz .LBB16_30
; %bb.15:                               ;   in Loop: Header=BB16_9 Depth=1
	s_mov_b64 s[54:55], 0
	v_pk_mov_b32 v[16:17], v[0:1], v[0:1] op_sel:[0,1]
	s_mov_b64 s[58:59], 0
                                        ; implicit-def: $sgpr2_sgpr3
                                        ; implicit-def: $sgpr50_sgpr51
                                        ; implicit-def: $sgpr56_sgpr57
	s_branch .LBB16_17
.LBB16_16:                              ;   in Loop: Header=BB16_17 Depth=2
	s_or_b64 exec, exec, s[0:1]
	s_xor_b64 s[0:1], s[60:61], -1
	s_and_b64 s[60:61], exec, s[62:63]
	s_or_b64 s[54:55], s[60:61], s[54:55]
	s_andn2_b64 s[50:51], s[50:51], exec
	s_and_b64 s[60:61], s[56:57], exec
	s_andn2_b64 s[2:3], s[2:3], exec
	s_and_b64 s[0:1], s[0:1], exec
	s_or_b64 s[50:51], s[50:51], s[60:61]
	s_or_b64 s[2:3], s[2:3], s[0:1]
	s_andn2_b64 exec, exec, s[54:55]
	s_cbranch_execz .LBB16_28
.LBB16_17:                              ;   Parent Loop BB16_9 Depth=1
                                        ; =>  This Loop Header: Depth=2
                                        ;       Child Loop BB16_21 Depth 3
	s_andn2_b64 vcc, exec, s[38:39]
	s_mov_b64 s[62:63], -1
	s_cbranch_vccnz .LBB16_25
; %bb.18:                               ;   in Loop: Header=BB16_17 Depth=2
	s_mov_b64 s[66:67], 0
	v_pk_mov_b32 v[18:19], v[16:17], v[16:17] op_sel:[0,1]
	s_mov_b64 s[72:73], s[20:21]
                                        ; implicit-def: $sgpr64_sgpr65
                                        ; implicit-def: $sgpr60_sgpr61
                                        ; implicit-def: $sgpr68_sgpr69
                                        ; implicit-def: $sgpr70_sgpr71
	s_branch .LBB16_21
.LBB16_19:                              ;   in Loop: Header=BB16_21 Depth=3
	s_or_b64 exec, exec, s[78:79]
	s_andn2_b64 s[70:71], s[70:71], exec
	s_and_b64 s[78:79], s[80:81], exec
	s_andn2_b64 s[68:69], s[68:69], exec
	s_and_b64 s[0:1], s[0:1], exec
	v_mov_b32_e32 v24, 2
	s_or_b64 s[70:71], s[70:71], s[78:79]
	s_or_b64 s[68:69], s[68:69], s[0:1]
.LBB16_20:                              ;   in Loop: Header=BB16_21 Depth=3
	s_or_b64 exec, exec, s[76:77]
	s_xor_b64 s[0:1], s[70:71], -1
	s_and_b64 s[76:77], exec, s[68:69]
	s_or_b64 s[66:67], s[76:77], s[66:67]
	s_andn2_b64 s[60:61], s[60:61], exec
	s_and_b64 s[74:75], s[74:75], exec
	s_andn2_b64 s[64:65], s[64:65], exec
	s_and_b64 s[0:1], s[0:1], exec
	s_or_b64 s[60:61], s[60:61], s[74:75]
	s_or_b64 s[64:65], s[64:65], s[0:1]
	s_andn2_b64 exec, exec, s[66:67]
	s_cbranch_execz .LBB16_24
.LBB16_21:                              ;   Parent Loop BB16_9 Depth=1
                                        ;     Parent Loop BB16_17 Depth=2
                                        ; =>    This Inner Loop Header: Depth=3
	global_load_dwordx2 v[20:21], v[18:19], off offset:-4
	s_mov_b64 s[74:75], -1
	v_mov_b32_e32 v24, 1
	s_or_b64 s[70:71], s[70:71], exec
	s_or_b64 s[68:69], s[68:69], exec
	s_waitcnt vmcnt(0)
	v_cmp_neq_f32_e32 vcc, s9, v20
	v_cmp_neq_f32_e64 s[0:1], s9, v21
	s_and_b64 s[0:1], vcc, s[0:1]
	s_and_saveexec_b64 s[76:77], s[0:1]
	s_xor_b64 s[76:77], exec, s[76:77]
	s_cbranch_execz .LBB16_20
; %bb.22:                               ;   in Loop: Header=BB16_21 Depth=3
	v_cmp_o_f32_e32 vcc, v20, v20
	v_cmp_o_f32_e64 s[0:1], v21, v21
	s_and_b64 s[86:87], vcc, s[0:1]
	s_mov_b64 s[0:1], -1
	s_mov_b64 s[80:81], -1
	s_and_saveexec_b64 s[78:79], s[86:87]
	s_cbranch_execz .LBB16_19
; %bb.23:                               ;   in Loop: Header=BB16_21 Depth=3
	s_add_u32 s72, s72, -1
	s_addc_u32 s73, s73, -1
	s_cmp_eq_u64 s[72:73], 0
	v_add_co_u32_e32 v18, vcc, 8, v18
	s_cselect_b64 s[0:1], -1, 0
	v_addc_co_u32_e32 v19, vcc, 0, v19, vcc
	s_xor_b64 s[80:81], exec, -1
	s_orn2_b64 s[0:1], s[0:1], exec
	s_branch .LBB16_19
.LBB16_24:                              ;   in Loop: Header=BB16_17 Depth=2
	s_or_b64 exec, exec, s[66:67]
	s_branch .LBB16_26
.LBB16_25:                              ;   in Loop: Header=BB16_17 Depth=2
	s_mov_b64 s[64:65], -1
                                        ; implicit-def: $sgpr60_sgpr61
                                        ; implicit-def: $vgpr24
.LBB16_26:                              ;   in Loop: Header=BB16_17 Depth=2
	s_andn2_b64 s[0:1], s[56:57], exec
	s_and_b64 s[56:57], s[60:61], exec
	s_or_b64 s[56:57], s[0:1], s[56:57]
	s_and_saveexec_b64 s[0:1], s[64:65]
	s_cbranch_execz .LBB16_16
; %bb.27:                               ;   in Loop: Header=BB16_17 Depth=2
	s_add_u32 s58, s58, 1
	s_addc_u32 s59, s59, 0
	s_cmp_eq_u64 s[58:59], s[22:23]
	v_mov_b32_e32 v18, s35
	v_add_co_u32_e32 v16, vcc, s34, v16
	s_cselect_b64 s[62:63], -1, 0
	v_addc_co_u32_e32 v17, vcc, v17, v18, vcc
	s_andn2_b64 s[60:61], s[60:61], exec
	s_andn2_b64 s[56:57], s[56:57], exec
	s_orn2_b64 s[62:63], s[62:63], exec
                                        ; implicit-def: $vgpr24
	s_branch .LBB16_16
.LBB16_28:                              ;   in Loop: Header=BB16_9 Depth=1
	s_or_b64 exec, exec, s[54:55]
	s_branch .LBB16_46
.LBB16_29:                              ;   in Loop: Header=BB16_9 Depth=1
	s_mov_b64 s[2:3], 0
	s_mov_b64 s[50:51], -1
	s_and_b64 vcc, exec, s[0:1]
	s_cbranch_vccnz .LBB16_31
	s_branch .LBB16_46
.LBB16_30:                              ;   in Loop: Header=BB16_9 Depth=1
	s_mov_b64 s[50:51], -1
	s_branch .LBB16_46
.LBB16_31:                              ;   in Loop: Header=BB16_9 Depth=1
	s_and_b64 vcc, exec, s[38:39]
	s_cbranch_vccz .LBB16_50
; %bb.32:                               ;   in Loop: Header=BB16_9 Depth=1
	s_mov_b64 s[54:55], 0
	v_pk_mov_b32 v[16:17], v[0:1], v[0:1] op_sel:[0,1]
	s_mov_b64 s[58:59], 0
                                        ; implicit-def: $sgpr2_sgpr3
                                        ; implicit-def: $sgpr50_sgpr51
                                        ; implicit-def: $sgpr56_sgpr57
	s_branch .LBB16_34
.LBB16_33:                              ;   in Loop: Header=BB16_34 Depth=2
	s_or_b64 exec, exec, s[0:1]
	s_xor_b64 s[0:1], s[60:61], -1
	s_and_b64 s[60:61], exec, s[62:63]
	s_or_b64 s[54:55], s[60:61], s[54:55]
	s_andn2_b64 s[50:51], s[50:51], exec
	s_and_b64 s[60:61], s[56:57], exec
	s_andn2_b64 s[2:3], s[2:3], exec
	s_and_b64 s[0:1], s[0:1], exec
	s_or_b64 s[50:51], s[50:51], s[60:61]
	s_or_b64 s[2:3], s[2:3], s[0:1]
	s_andn2_b64 exec, exec, s[54:55]
	s_cbranch_execz .LBB16_45
.LBB16_34:                              ;   Parent Loop BB16_9 Depth=1
                                        ; =>  This Loop Header: Depth=2
                                        ;       Child Loop BB16_38 Depth 3
	s_andn2_b64 vcc, exec, s[28:29]
	s_mov_b64 s[62:63], -1
	s_cbranch_vccnz .LBB16_42
; %bb.35:                               ;   in Loop: Header=BB16_34 Depth=2
	s_mov_b64 s[66:67], 0
	v_pk_mov_b32 v[18:19], v[16:17], v[16:17] op_sel:[0,1]
	s_mov_b64 s[72:73], s[22:23]
                                        ; implicit-def: $sgpr64_sgpr65
                                        ; implicit-def: $sgpr60_sgpr61
                                        ; implicit-def: $sgpr68_sgpr69
                                        ; implicit-def: $sgpr70_sgpr71
	s_branch .LBB16_38
.LBB16_36:                              ;   in Loop: Header=BB16_38 Depth=3
	s_or_b64 exec, exec, s[78:79]
	s_andn2_b64 s[70:71], s[70:71], exec
	s_and_b64 s[78:79], s[80:81], exec
	s_andn2_b64 s[68:69], s[68:69], exec
	s_and_b64 s[0:1], s[0:1], exec
	v_mov_b32_e32 v24, 2
	s_or_b64 s[70:71], s[70:71], s[78:79]
	s_or_b64 s[68:69], s[68:69], s[0:1]
.LBB16_37:                              ;   in Loop: Header=BB16_38 Depth=3
	s_or_b64 exec, exec, s[76:77]
	s_xor_b64 s[0:1], s[70:71], -1
	s_and_b64 s[76:77], exec, s[68:69]
	s_or_b64 s[66:67], s[76:77], s[66:67]
	s_andn2_b64 s[60:61], s[60:61], exec
	s_and_b64 s[74:75], s[74:75], exec
	s_andn2_b64 s[64:65], s[64:65], exec
	s_and_b64 s[0:1], s[0:1], exec
	s_or_b64 s[60:61], s[60:61], s[74:75]
	s_or_b64 s[64:65], s[64:65], s[0:1]
	s_andn2_b64 exec, exec, s[66:67]
	s_cbranch_execz .LBB16_41
.LBB16_38:                              ;   Parent Loop BB16_9 Depth=1
                                        ;     Parent Loop BB16_34 Depth=2
                                        ; =>    This Inner Loop Header: Depth=3
	global_load_dwordx2 v[20:21], v[18:19], off offset:-4
	s_mov_b64 s[74:75], -1
	v_mov_b32_e32 v24, 1
	s_or_b64 s[70:71], s[70:71], exec
	s_or_b64 s[68:69], s[68:69], exec
	s_waitcnt vmcnt(0)
	v_cmp_neq_f32_e32 vcc, s9, v20
	v_cmp_neq_f32_e64 s[0:1], s9, v21
	s_and_b64 s[0:1], vcc, s[0:1]
	s_and_saveexec_b64 s[76:77], s[0:1]
	s_xor_b64 s[76:77], exec, s[76:77]
	s_cbranch_execz .LBB16_37
; %bb.39:                               ;   in Loop: Header=BB16_38 Depth=3
	v_cmp_o_f32_e32 vcc, v20, v20
	v_cmp_o_f32_e64 s[0:1], v21, v21
	s_and_b64 s[86:87], vcc, s[0:1]
	s_mov_b64 s[0:1], -1
	s_mov_b64 s[80:81], -1
	s_and_saveexec_b64 s[78:79], s[86:87]
	s_cbranch_execz .LBB16_36
; %bb.40:                               ;   in Loop: Header=BB16_38 Depth=3
	s_add_u32 s72, s72, -1
	s_addc_u32 s73, s73, -1
	s_cmp_eq_u64 s[72:73], 0
	v_add_co_u32_e32 v18, vcc, 8, v18
	s_cselect_b64 s[0:1], -1, 0
	v_addc_co_u32_e32 v19, vcc, 0, v19, vcc
	s_xor_b64 s[80:81], exec, -1
	s_orn2_b64 s[0:1], s[0:1], exec
	s_branch .LBB16_36
.LBB16_41:                              ;   in Loop: Header=BB16_34 Depth=2
	s_or_b64 exec, exec, s[66:67]
	s_branch .LBB16_43
.LBB16_42:                              ;   in Loop: Header=BB16_34 Depth=2
	s_mov_b64 s[64:65], -1
                                        ; implicit-def: $sgpr60_sgpr61
                                        ; implicit-def: $vgpr24
.LBB16_43:                              ;   in Loop: Header=BB16_34 Depth=2
	s_andn2_b64 s[0:1], s[56:57], exec
	s_and_b64 s[56:57], s[60:61], exec
	s_or_b64 s[56:57], s[0:1], s[56:57]
	s_and_saveexec_b64 s[0:1], s[64:65]
	s_cbranch_execz .LBB16_33
; %bb.44:                               ;   in Loop: Header=BB16_34 Depth=2
	s_add_u32 s58, s58, 1
	s_addc_u32 s59, s59, 0
	s_cmp_eq_u64 s[58:59], s[20:21]
	v_mov_b32_e32 v18, s37
	v_add_co_u32_e32 v16, vcc, s36, v16
	s_cselect_b64 s[62:63], -1, 0
	v_addc_co_u32_e32 v17, vcc, v17, v18, vcc
	s_andn2_b64 s[60:61], s[60:61], exec
	s_andn2_b64 s[56:57], s[56:57], exec
	s_orn2_b64 s[62:63], s[62:63], exec
                                        ; implicit-def: $vgpr24
	s_branch .LBB16_33
.LBB16_45:                              ;   in Loop: Header=BB16_9 Depth=1
	s_or_b64 exec, exec, s[54:55]
.LBB16_46:                              ;   in Loop: Header=BB16_9 Depth=1
	s_mov_b64 s[0:1], -1
	s_and_saveexec_b64 s[54:55], s[2:3]
	s_cbranch_execz .LBB16_6
.LBB16_47:                              ;   in Loop: Header=BB16_9 Depth=1
	s_and_b64 vcc, exec, s[12:13]
	s_cbranch_vccz .LBB16_51
; %bb.48:                               ;   in Loop: Header=BB16_9 Depth=1
	s_and_b64 vcc, exec, s[30:31]
	s_cbranch_vccz .LBB16_52
; %bb.49:                               ;   in Loop: Header=BB16_9 Depth=1
	v_cmp_ge_i64_e32 vcc, v[14:15], v[4:5]
	v_mov_b32_e32 v24, 7
	s_or_b64 s[56:57], s[50:51], exec
	s_and_b64 s[2:3], vcc, exec
	s_cbranch_execz .LBB16_53
	s_branch .LBB16_54
.LBB16_50:                              ;   in Loop: Header=BB16_9 Depth=1
	s_mov_b64 s[2:3], -1
	s_mov_b64 s[0:1], -1
	s_and_saveexec_b64 s[54:55], s[2:3]
	s_cbranch_execz .LBB16_6
	s_branch .LBB16_47
.LBB16_51:                              ;   in Loop: Header=BB16_9 Depth=1
	s_mov_b64 s[2:3], -1
	s_mov_b64 s[56:57], s[50:51]
	s_branch .LBB16_54
.LBB16_52:                              ;   in Loop: Header=BB16_9 Depth=1
	s_mov_b64 s[2:3], 0
	s_mov_b64 s[56:57], s[50:51]
.LBB16_53:                              ;   in Loop: Header=BB16_9 Depth=1
	v_cmp_le_i64_e32 vcc, v[14:15], v[4:5]
	s_andn2_b64 s[2:3], s[2:3], exec
	s_and_b64 s[58:59], vcc, exec
	v_mov_b32_e32 v24, 7
	s_or_b64 s[56:57], s[56:57], exec
	s_or_b64 s[2:3], s[2:3], s[58:59]
.LBB16_54:                              ;   in Loop: Header=BB16_9 Depth=1
	s_and_saveexec_b64 s[58:59], s[2:3]
	s_cbranch_execz .LBB16_5
; %bb.55:                               ;   in Loop: Header=BB16_9 Depth=1
	s_or_b64 s[60:61], s[14:15], s[52:53]
	s_xor_b64 s[0:1], s[60:61], -1
	s_mov_b64 s[52:53], s[56:57]
	s_and_saveexec_b64 s[62:63], s[0:1]
	s_cbranch_execz .LBB16_57
; %bb.56:                               ;   in Loop: Header=BB16_9 Depth=1
	global_load_dwordx2 v[12:13], v[12:13], off offset:-8
	v_mov_b32_e32 v15, s33
	v_mov_b32_e32 v24, 6
	s_or_b64 s[52:53], s[56:57], exec
	s_waitcnt vmcnt(0)
	v_subrev_co_u32_e32 v14, vcc, s82, v12
	v_subb_co_u32_e32 v15, vcc, v13, v15, vcc
	v_cmp_lt_i64_e64 s[0:1], -1, v[14:15]
	v_cmp_gt_i64_e64 s[2:3], s[18:19], v[14:15]
	s_and_b64 s[0:1], s[0:1], s[2:3]
	v_cmp_gt_i64_e32 vcc, v[10:11], v[12:13]
	s_xor_b64 s[0:1], s[0:1], -1
	s_or_b64 s[0:1], vcc, s[0:1]
	s_andn2_b64 s[2:3], s[60:61], exec
	s_and_b64 s[0:1], s[0:1], exec
	s_or_b64 s[60:61], s[2:3], s[0:1]
.LBB16_57:                              ;   in Loop: Header=BB16_9 Depth=1
	s_or_b64 exec, exec, s[62:63]
	s_mov_b64 s[0:1], -1
	s_and_saveexec_b64 s[2:3], s[60:61]
	s_cbranch_execz .LBB16_4
; %bb.58:                               ;   in Loop: Header=BB16_9 Depth=1
	v_add_co_u32_e32 v2, vcc, 1, v2
	v_addc_co_u32_e32 v3, vcc, 0, v3, vcc
	v_mov_b32_e32 v10, s11
	v_add_co_u32_e32 v0, vcc, s10, v0
	v_addc_co_u32_e32 v1, vcc, v1, v10, vcc
	v_cmp_ge_i64_e32 vcc, v[2:3], v[8:9]
	s_andn2_b64 s[52:53], s[52:53], exec
	s_orn2_b64 s[0:1], vcc, exec
                                        ; implicit-def: $vgpr24
	s_branch .LBB16_4
.LBB16_59:
	s_or_b64 exec, exec, s[24:25]
	s_and_b64 s[8:9], s[40:41], exec
.LBB16_60:
	s_or_b64 exec, exec, s[16:17]
	s_orn2_b64 s[10:11], s[8:9], exec
.LBB16_61:
	s_or_b64 exec, exec, s[6:7]
	s_and_b64 exec, exec, s[10:11]
	s_cbranch_execz .LBB16_63
; %bb.62:
	s_load_dwordx2 s[0:1], s[4:5], 0x60
	v_mov_b32_e32 v0, 0
	s_waitcnt lgkmcnt(0)
	global_store_dword v0, v24, s[0:1]
.LBB16_63:
	s_endpgm
	.section	.rodata,"a",@progbits
	.p2align	6, 0x0
	.amdhsa_kernel _ZN9rocsparseL25check_matrix_gebsr_deviceILj256E21rocsparse_complex_numIfEllEEv20rocsparse_direction_T2_S4_T1_S4_S4_PKT0_PKS5_PKS4_SC_21rocsparse_index_base_22rocsparse_matrix_type_20rocsparse_fill_mode_23rocsparse_storage_mode_P22rocsparse_data_status_
		.amdhsa_group_segment_fixed_size 0
		.amdhsa_private_segment_fixed_size 0
		.amdhsa_kernarg_size 104
		.amdhsa_user_sgpr_count 6
		.amdhsa_user_sgpr_private_segment_buffer 1
		.amdhsa_user_sgpr_dispatch_ptr 0
		.amdhsa_user_sgpr_queue_ptr 0
		.amdhsa_user_sgpr_kernarg_segment_ptr 1
		.amdhsa_user_sgpr_dispatch_id 0
		.amdhsa_user_sgpr_flat_scratch_init 0
		.amdhsa_user_sgpr_kernarg_preload_length 0
		.amdhsa_user_sgpr_kernarg_preload_offset 0
		.amdhsa_user_sgpr_private_segment_size 0
		.amdhsa_uses_dynamic_stack 0
		.amdhsa_system_sgpr_private_segment_wavefront_offset 0
		.amdhsa_system_sgpr_workgroup_id_x 1
		.amdhsa_system_sgpr_workgroup_id_y 0
		.amdhsa_system_sgpr_workgroup_id_z 0
		.amdhsa_system_sgpr_workgroup_info 0
		.amdhsa_system_vgpr_workitem_id 0
		.amdhsa_next_free_vgpr 25
		.amdhsa_next_free_sgpr 88
		.amdhsa_accum_offset 28
		.amdhsa_reserve_vcc 1
		.amdhsa_reserve_flat_scratch 0
		.amdhsa_float_round_mode_32 0
		.amdhsa_float_round_mode_16_64 0
		.amdhsa_float_denorm_mode_32 3
		.amdhsa_float_denorm_mode_16_64 3
		.amdhsa_dx10_clamp 1
		.amdhsa_ieee_mode 1
		.amdhsa_fp16_overflow 0
		.amdhsa_tg_split 0
		.amdhsa_exception_fp_ieee_invalid_op 0
		.amdhsa_exception_fp_denorm_src 0
		.amdhsa_exception_fp_ieee_div_zero 0
		.amdhsa_exception_fp_ieee_overflow 0
		.amdhsa_exception_fp_ieee_underflow 0
		.amdhsa_exception_fp_ieee_inexact 0
		.amdhsa_exception_int_div_zero 0
	.end_amdhsa_kernel
	.section	.text._ZN9rocsparseL25check_matrix_gebsr_deviceILj256E21rocsparse_complex_numIfEllEEv20rocsparse_direction_T2_S4_T1_S4_S4_PKT0_PKS5_PKS4_SC_21rocsparse_index_base_22rocsparse_matrix_type_20rocsparse_fill_mode_23rocsparse_storage_mode_P22rocsparse_data_status_,"axG",@progbits,_ZN9rocsparseL25check_matrix_gebsr_deviceILj256E21rocsparse_complex_numIfEllEEv20rocsparse_direction_T2_S4_T1_S4_S4_PKT0_PKS5_PKS4_SC_21rocsparse_index_base_22rocsparse_matrix_type_20rocsparse_fill_mode_23rocsparse_storage_mode_P22rocsparse_data_status_,comdat
.Lfunc_end16:
	.size	_ZN9rocsparseL25check_matrix_gebsr_deviceILj256E21rocsparse_complex_numIfEllEEv20rocsparse_direction_T2_S4_T1_S4_S4_PKT0_PKS5_PKS4_SC_21rocsparse_index_base_22rocsparse_matrix_type_20rocsparse_fill_mode_23rocsparse_storage_mode_P22rocsparse_data_status_, .Lfunc_end16-_ZN9rocsparseL25check_matrix_gebsr_deviceILj256E21rocsparse_complex_numIfEllEEv20rocsparse_direction_T2_S4_T1_S4_S4_PKT0_PKS5_PKS4_SC_21rocsparse_index_base_22rocsparse_matrix_type_20rocsparse_fill_mode_23rocsparse_storage_mode_P22rocsparse_data_status_
                                        ; -- End function
	.section	.AMDGPU.csdata,"",@progbits
; Kernel info:
; codeLenInByte = 1872
; NumSgprs: 92
; NumVgprs: 25
; NumAgprs: 0
; TotalNumVgprs: 25
; ScratchSize: 0
; MemoryBound: 0
; FloatMode: 240
; IeeeMode: 1
; LDSByteSize: 0 bytes/workgroup (compile time only)
; SGPRBlocks: 11
; VGPRBlocks: 3
; NumSGPRsForWavesPerEU: 92
; NumVGPRsForWavesPerEU: 25
; AccumOffset: 28
; Occupancy: 8
; WaveLimiterHint : 0
; COMPUTE_PGM_RSRC2:SCRATCH_EN: 0
; COMPUTE_PGM_RSRC2:USER_SGPR: 6
; COMPUTE_PGM_RSRC2:TRAP_HANDLER: 0
; COMPUTE_PGM_RSRC2:TGID_X_EN: 1
; COMPUTE_PGM_RSRC2:TGID_Y_EN: 0
; COMPUTE_PGM_RSRC2:TGID_Z_EN: 0
; COMPUTE_PGM_RSRC2:TIDIG_COMP_CNT: 0
; COMPUTE_PGM_RSRC3_GFX90A:ACCUM_OFFSET: 6
; COMPUTE_PGM_RSRC3_GFX90A:TG_SPLIT: 0
	.section	.text._ZN9rocsparseL25check_matrix_gebsr_deviceILj256E21rocsparse_complex_numIdEllEEv20rocsparse_direction_T2_S4_T1_S4_S4_PKT0_PKS5_PKS4_SC_21rocsparse_index_base_22rocsparse_matrix_type_20rocsparse_fill_mode_23rocsparse_storage_mode_P22rocsparse_data_status_,"axG",@progbits,_ZN9rocsparseL25check_matrix_gebsr_deviceILj256E21rocsparse_complex_numIdEllEEv20rocsparse_direction_T2_S4_T1_S4_S4_PKT0_PKS5_PKS4_SC_21rocsparse_index_base_22rocsparse_matrix_type_20rocsparse_fill_mode_23rocsparse_storage_mode_P22rocsparse_data_status_,comdat
	.globl	_ZN9rocsparseL25check_matrix_gebsr_deviceILj256E21rocsparse_complex_numIdEllEEv20rocsparse_direction_T2_S4_T1_S4_S4_PKT0_PKS5_PKS4_SC_21rocsparse_index_base_22rocsparse_matrix_type_20rocsparse_fill_mode_23rocsparse_storage_mode_P22rocsparse_data_status_ ; -- Begin function _ZN9rocsparseL25check_matrix_gebsr_deviceILj256E21rocsparse_complex_numIdEllEEv20rocsparse_direction_T2_S4_T1_S4_S4_PKT0_PKS5_PKS4_SC_21rocsparse_index_base_22rocsparse_matrix_type_20rocsparse_fill_mode_23rocsparse_storage_mode_P22rocsparse_data_status_
	.p2align	8
	.type	_ZN9rocsparseL25check_matrix_gebsr_deviceILj256E21rocsparse_complex_numIdEllEEv20rocsparse_direction_T2_S4_T1_S4_S4_PKT0_PKS5_PKS4_SC_21rocsparse_index_base_22rocsparse_matrix_type_20rocsparse_fill_mode_23rocsparse_storage_mode_P22rocsparse_data_status_,@function
_ZN9rocsparseL25check_matrix_gebsr_deviceILj256E21rocsparse_complex_numIdEllEEv20rocsparse_direction_T2_S4_T1_S4_S4_PKT0_PKS5_PKS4_SC_21rocsparse_index_base_22rocsparse_matrix_type_20rocsparse_fill_mode_23rocsparse_storage_mode_P22rocsparse_data_status_: ; @_ZN9rocsparseL25check_matrix_gebsr_deviceILj256E21rocsparse_complex_numIdEllEEv20rocsparse_direction_T2_S4_T1_S4_S4_PKT0_PKS5_PKS4_SC_21rocsparse_index_base_22rocsparse_matrix_type_20rocsparse_fill_mode_23rocsparse_storage_mode_P22rocsparse_data_status_
; %bb.0:
	s_load_dwordx4 s[16:19], s[4:5], 0x8
	v_lshl_or_b32 v4, s6, 8, v0
	v_mov_b32_e32 v5, 0
	s_waitcnt lgkmcnt(0)
	v_cmp_gt_i64_e32 vcc, s[16:17], v[4:5]
	s_and_saveexec_b64 s[0:1], vcc
	s_cbranch_execz .LBB17_63
; %bb.1:
	s_load_dwordx2 s[0:1], s[4:5], 0x38
	v_lshlrev_b64 v[0:1], 3, v[4:5]
	s_mov_b64 s[10:11], -1
	s_mov_b64 s[8:9], 0
	v_mov_b32_e32 v26, 3
	s_waitcnt lgkmcnt(0)
	v_mov_b32_e32 v2, s1
	v_add_co_u32_e32 v0, vcc, s0, v0
	v_addc_co_u32_e32 v1, vcc, v2, v1, vcc
	global_load_dwordx4 v[0:3], v[0:1], off
	s_load_dwordx2 s[0:1], s[0:1], 0x0
	s_waitcnt lgkmcnt(0)
	v_mov_b32_e32 v9, s1
	s_waitcnt vmcnt(0)
	v_subrev_co_u32_e32 v6, vcc, s0, v0
	v_subb_co_u32_e32 v7, vcc, v1, v9, vcc
	v_subrev_co_u32_e32 v8, vcc, s0, v2
	v_subb_co_u32_e32 v9, vcc, v3, v9, vcc
	v_cmp_lt_i64_e32 vcc, v[2:3], v[0:1]
	v_cmp_gt_i64_e64 s[2:3], 0, v[8:9]
	s_or_b64 s[2:3], s[2:3], vcc
	v_cmp_lt_i64_e64 s[0:1], -1, v[6:7]
	s_xor_b64 s[2:3], s[2:3], -1
	s_and_b64 s[0:1], s[0:1], s[2:3]
	s_and_saveexec_b64 s[6:7], s[0:1]
	s_cbranch_execz .LBB17_61
; %bb.2:
	v_cmp_lt_i64_e32 vcc, v[0:1], v[2:3]
	v_mov_b32_e32 v26, 3
	s_and_saveexec_b64 s[16:17], vcc
	s_cbranch_execz .LBB17_60
; %bb.3:
	s_load_dwordx8 s[8:15], s[4:5], 0x40
	s_load_dword s2, s[4:5], 0x0
	s_load_dwordx2 s[0:1], s[4:5], 0x30
	s_load_dwordx4 s[20:23], s[4:5], 0x20
	s_mov_b32 s33, 0
	s_waitcnt lgkmcnt(0)
	s_mov_b32 s84, s12
	s_cmp_lg_u32 s2, 0
	s_cselect_b64 s[26:27], -1, 0
	s_cmp_lg_u32 s13, 0
	s_cselect_b64 s[12:13], -1, 0
	;; [unrolled: 2-line block ×4, first 2 shown]
	s_add_u32 s85, s10, -8
	s_mul_i32 s2, s22, s21
	s_mul_hi_u32 s3, s22, s20
	s_addc_u32 s86, s11, -1
	s_add_i32 s2, s3, s2
	s_mul_i32 s3, s23, s20
	s_add_i32 s3, s2, s3
	s_mul_i32 s2, s22, s20
	v_mul_lo_u32 v2, s3, v6
	v_mul_lo_u32 v3, s2, v7
	v_mad_u64_u32 v[0:1], s[10:11], s2, v6, 0
	v_add3_u32 v1, v1, v3, v2
	v_lshlrev_b64 v[0:1], 4, v[0:1]
	v_mov_b32_e32 v2, s1
	v_add_co_u32_e32 v0, vcc, s0, v0
	v_addc_co_u32_e32 v1, vcc, v1, v2, vcc
	v_add_co_u32_e32 v10, vcc, 8, v0
	s_mov_b32 s40, 0
	s_mov_b64 s[24:25], 0
	v_cmp_gt_i64_e64 s[28:29], s[22:23], 0
	v_addc_co_u32_e32 v11, vcc, 0, v1, vcc
	s_lshl_b64 s[10:11], s[2:3], 4
	s_lshl_b64 s[34:35], s[20:21], 4
	;; [unrolled: 1-line block ×3, first 2 shown]
	v_mov_b32_e32 v24, s9
	v_mov_b32_e32 v25, s33
	v_cmp_gt_i64_e64 s[38:39], s[20:21], 0
	s_mov_b32 s41, 0x7ff00000
	v_pk_mov_b32 v[12:13], v[6:7], v[6:7] op_sel:[0,1]
                                        ; implicit-def: $sgpr42_sgpr43
                                        ; implicit-def: $sgpr44_sgpr45
                                        ; implicit-def: $sgpr46_sgpr47
	s_branch .LBB17_9
.LBB17_4:                               ;   in Loop: Header=BB17_9 Depth=1
	s_or_b64 exec, exec, s[2:3]
	s_andn2_b64 s[2:3], s[58:59], exec
	s_and_b64 s[54:55], s[54:55], exec
	s_or_b64 s[58:59], s[2:3], s[54:55]
	s_orn2_b64 s[0:1], s[0:1], exec
.LBB17_5:                               ;   in Loop: Header=BB17_9 Depth=1
	s_or_b64 exec, exec, s[60:61]
	s_andn2_b64 s[2:3], s[52:53], exec
	s_and_b64 s[52:53], s[58:59], exec
	s_or_b64 s[52:53], s[2:3], s[52:53]
	s_orn2_b64 s[0:1], s[0:1], exec
.LBB17_6:                               ;   in Loop: Header=BB17_9 Depth=1
	s_or_b64 exec, exec, s[56:57]
	s_orn2_b64 s[2:3], s[52:53], exec
	s_orn2_b64 s[0:1], s[0:1], exec
.LBB17_7:                               ;   in Loop: Header=BB17_9 Depth=1
	s_or_b64 exec, exec, s[50:51]
	s_andn2_b64 s[46:47], s[46:47], exec
	s_and_b64 s[2:3], s[2:3], exec
	s_or_b64 s[46:47], s[46:47], s[2:3]
	s_andn2_b64 s[2:3], s[44:45], exec
	s_and_b64 s[0:1], s[0:1], exec
	s_or_b64 s[44:45], s[2:3], s[0:1]
.LBB17_8:                               ;   in Loop: Header=BB17_9 Depth=1
	s_or_b64 exec, exec, s[48:49]
	s_and_b64 s[0:1], exec, s[44:45]
	s_or_b64 s[24:25], s[0:1], s[24:25]
	s_andn2_b64 s[0:1], s[42:43], exec
	s_and_b64 s[2:3], s[46:47], exec
	s_or_b64 s[42:43], s[0:1], s[2:3]
	s_andn2_b64 exec, exec, s[24:25]
	s_cbranch_execz .LBB17_59
.LBB17_9:                               ; =>This Loop Header: Depth=1
                                        ;     Child Loop BB17_34 Depth 2
                                        ;       Child Loop BB17_38 Depth 3
                                        ;     Child Loop BB17_17 Depth 2
                                        ;       Child Loop BB17_21 Depth 3
	v_lshlrev_b64 v[0:1], 3, v[12:13]
	v_add_co_u32_e32 v16, vcc, s8, v0
	v_addc_co_u32_e32 v17, vcc, v24, v1, vcc
	global_load_dwordx2 v[14:15], v[16:17], off
	v_mov_b32_e32 v26, 4
	s_or_b64 s[46:47], s[46:47], exec
	s_or_b64 s[44:45], s[44:45], exec
	s_waitcnt vmcnt(0)
	v_subrev_co_u32_e32 v18, vcc, s84, v14
	v_subb_co_u32_e32 v19, vcc, v15, v25, vcc
	v_cmp_lt_i64_e32 vcc, -1, v[18:19]
	v_cmp_gt_i64_e64 s[0:1], s[18:19], v[18:19]
	s_and_b64 s[0:1], vcc, s[0:1]
	s_and_saveexec_b64 s[48:49], s[0:1]
	s_cbranch_execz .LBB17_8
; %bb.10:                               ;   in Loop: Header=BB17_9 Depth=1
	v_cmp_le_i64_e64 s[54:55], v[12:13], v[6:7]
	v_cmp_gt_i64_e32 vcc, v[12:13], v[6:7]
	v_mov_b32_e32 v26, 4
	s_mov_b64 s[52:53], s[54:55]
	s_and_saveexec_b64 s[50:51], vcc
	s_cbranch_execz .LBB17_12
; %bb.11:                               ;   in Loop: Header=BB17_9 Depth=1
	v_mov_b32_e32 v2, s86
	v_add_co_u32_e32 v0, vcc, s85, v0
	v_addc_co_u32_e32 v1, vcc, v2, v1, vcc
	global_load_dwordx4 v[0:3], v[0:1], off
	v_mov_b32_e32 v26, 5
	s_waitcnt vmcnt(0)
	v_subrev_co_u32_e32 v20, vcc, s84, v0
	v_subb_co_u32_e32 v21, vcc, v1, v25, vcc
	v_cmp_lt_i64_e64 s[0:1], -1, v[20:21]
	v_cmp_gt_i64_e64 s[2:3], s[18:19], v[20:21]
	s_and_b64 s[0:1], s[0:1], s[2:3]
	v_cmp_ne_u64_e32 vcc, v[2:3], v[0:1]
	s_xor_b64 s[0:1], s[0:1], -1
	s_or_b64 s[0:1], vcc, s[0:1]
	s_andn2_b64 s[2:3], s[54:55], exec
	s_and_b64 s[0:1], s[0:1], exec
	s_or_b64 s[52:53], s[2:3], s[0:1]
.LBB17_12:                              ;   in Loop: Header=BB17_9 Depth=1
	s_or_b64 exec, exec, s[50:51]
	s_mov_b64 s[0:1], -1
	s_mov_b64 s[2:3], -1
	s_and_saveexec_b64 s[50:51], s[52:53]
	s_cbranch_execz .LBB17_7
; %bb.13:                               ;   in Loop: Header=BB17_9 Depth=1
	s_and_b64 vcc, exec, s[26:27]
	s_cbranch_vccz .LBB17_29
; %bb.14:                               ;   in Loop: Header=BB17_9 Depth=1
	s_and_b64 vcc, exec, s[28:29]
	s_cbranch_vccz .LBB17_30
; %bb.15:                               ;   in Loop: Header=BB17_9 Depth=1
	s_mov_b64 s[56:57], 0
	v_pk_mov_b32 v[20:21], v[10:11], v[10:11] op_sel:[0,1]
	s_mov_b64 s[60:61], 0
                                        ; implicit-def: $sgpr2_sgpr3
                                        ; implicit-def: $sgpr52_sgpr53
                                        ; implicit-def: $sgpr58_sgpr59
	s_branch .LBB17_17
.LBB17_16:                              ;   in Loop: Header=BB17_17 Depth=2
	s_or_b64 exec, exec, s[0:1]
	s_xor_b64 s[0:1], s[62:63], -1
	s_and_b64 s[62:63], exec, s[64:65]
	s_or_b64 s[56:57], s[62:63], s[56:57]
	s_andn2_b64 s[52:53], s[52:53], exec
	s_and_b64 s[62:63], s[58:59], exec
	s_andn2_b64 s[2:3], s[2:3], exec
	s_and_b64 s[0:1], s[0:1], exec
	s_or_b64 s[52:53], s[52:53], s[62:63]
	s_or_b64 s[2:3], s[2:3], s[0:1]
	s_andn2_b64 exec, exec, s[56:57]
	s_cbranch_execz .LBB17_28
.LBB17_17:                              ;   Parent Loop BB17_9 Depth=1
                                        ; =>  This Loop Header: Depth=2
                                        ;       Child Loop BB17_21 Depth 3
	s_andn2_b64 vcc, exec, s[38:39]
	s_mov_b64 s[64:65], -1
	s_cbranch_vccnz .LBB17_25
; %bb.18:                               ;   in Loop: Header=BB17_17 Depth=2
	s_mov_b64 s[68:69], 0
	v_pk_mov_b32 v[22:23], v[20:21], v[20:21] op_sel:[0,1]
	s_mov_b64 s[74:75], s[20:21]
                                        ; implicit-def: $sgpr66_sgpr67
                                        ; implicit-def: $sgpr62_sgpr63
                                        ; implicit-def: $sgpr70_sgpr71
                                        ; implicit-def: $sgpr72_sgpr73
	s_branch .LBB17_21
.LBB17_19:                              ;   in Loop: Header=BB17_21 Depth=3
	s_or_b64 exec, exec, s[80:81]
	s_andn2_b64 s[72:73], s[72:73], exec
	s_and_b64 s[80:81], s[82:83], exec
	s_andn2_b64 s[70:71], s[70:71], exec
	s_and_b64 s[0:1], s[0:1], exec
	v_mov_b32_e32 v26, 2
	s_or_b64 s[72:73], s[72:73], s[80:81]
	s_or_b64 s[70:71], s[70:71], s[0:1]
.LBB17_20:                              ;   in Loop: Header=BB17_21 Depth=3
	s_or_b64 exec, exec, s[78:79]
	s_xor_b64 s[0:1], s[72:73], -1
	s_and_b64 s[78:79], exec, s[70:71]
	s_or_b64 s[68:69], s[78:79], s[68:69]
	s_andn2_b64 s[62:63], s[62:63], exec
	s_and_b64 s[76:77], s[76:77], exec
	s_andn2_b64 s[66:67], s[66:67], exec
	s_and_b64 s[0:1], s[0:1], exec
	s_or_b64 s[62:63], s[62:63], s[76:77]
	s_or_b64 s[66:67], s[66:67], s[0:1]
	s_andn2_b64 exec, exec, s[68:69]
	s_cbranch_execz .LBB17_24
.LBB17_21:                              ;   Parent Loop BB17_9 Depth=1
                                        ;     Parent Loop BB17_17 Depth=2
                                        ; =>    This Inner Loop Header: Depth=3
	global_load_dwordx4 v[0:3], v[22:23], off offset:-8
	s_mov_b64 s[76:77], -1
	v_mov_b32_e32 v26, 1
	s_or_b64 s[72:73], s[72:73], exec
	s_or_b64 s[70:71], s[70:71], exec
	s_waitcnt vmcnt(0)
	v_cmp_neq_f64_e32 vcc, s[40:41], v[0:1]
	v_cmp_neq_f64_e64 s[0:1], s[40:41], v[2:3]
	s_and_b64 s[0:1], vcc, s[0:1]
	s_and_saveexec_b64 s[78:79], s[0:1]
	s_xor_b64 s[78:79], exec, s[78:79]
	s_cbranch_execz .LBB17_20
; %bb.22:                               ;   in Loop: Header=BB17_21 Depth=3
	v_cmp_o_f64_e32 vcc, v[0:1], v[0:1]
	v_cmp_o_f64_e64 s[0:1], v[2:3], v[2:3]
	s_and_b64 s[88:89], vcc, s[0:1]
	s_mov_b64 s[0:1], -1
	s_mov_b64 s[82:83], -1
	s_and_saveexec_b64 s[80:81], s[88:89]
	s_cbranch_execz .LBB17_19
; %bb.23:                               ;   in Loop: Header=BB17_21 Depth=3
	s_add_u32 s74, s74, -1
	s_addc_u32 s75, s75, -1
	s_cmp_eq_u64 s[74:75], 0
	v_add_co_u32_e32 v22, vcc, 16, v22
	s_cselect_b64 s[0:1], -1, 0
	v_addc_co_u32_e32 v23, vcc, 0, v23, vcc
	s_xor_b64 s[82:83], exec, -1
	s_orn2_b64 s[0:1], s[0:1], exec
	s_branch .LBB17_19
.LBB17_24:                              ;   in Loop: Header=BB17_17 Depth=2
	s_or_b64 exec, exec, s[68:69]
	s_branch .LBB17_26
.LBB17_25:                              ;   in Loop: Header=BB17_17 Depth=2
	s_mov_b64 s[66:67], -1
                                        ; implicit-def: $sgpr62_sgpr63
                                        ; implicit-def: $vgpr26
.LBB17_26:                              ;   in Loop: Header=BB17_17 Depth=2
	s_andn2_b64 s[0:1], s[58:59], exec
	s_and_b64 s[58:59], s[62:63], exec
	s_or_b64 s[58:59], s[0:1], s[58:59]
	s_and_saveexec_b64 s[0:1], s[66:67]
	s_cbranch_execz .LBB17_16
; %bb.27:                               ;   in Loop: Header=BB17_17 Depth=2
	s_add_u32 s60, s60, 1
	s_addc_u32 s61, s61, 0
	s_cmp_eq_u64 s[60:61], s[22:23]
	v_mov_b32_e32 v0, s35
	v_add_co_u32_e32 v20, vcc, s34, v20
	s_cselect_b64 s[64:65], -1, 0
	v_addc_co_u32_e32 v21, vcc, v21, v0, vcc
	s_andn2_b64 s[62:63], s[62:63], exec
	s_andn2_b64 s[58:59], s[58:59], exec
	s_orn2_b64 s[64:65], s[64:65], exec
                                        ; implicit-def: $vgpr26
	s_branch .LBB17_16
.LBB17_28:                              ;   in Loop: Header=BB17_9 Depth=1
	s_or_b64 exec, exec, s[56:57]
	s_branch .LBB17_46
.LBB17_29:                              ;   in Loop: Header=BB17_9 Depth=1
	s_mov_b64 s[2:3], 0
	s_mov_b64 s[52:53], -1
	s_and_b64 vcc, exec, s[0:1]
	s_cbranch_vccnz .LBB17_31
	s_branch .LBB17_46
.LBB17_30:                              ;   in Loop: Header=BB17_9 Depth=1
	s_mov_b64 s[52:53], -1
	s_branch .LBB17_46
.LBB17_31:                              ;   in Loop: Header=BB17_9 Depth=1
	s_and_b64 vcc, exec, s[38:39]
	s_cbranch_vccz .LBB17_50
; %bb.32:                               ;   in Loop: Header=BB17_9 Depth=1
	s_mov_b64 s[56:57], 0
	v_pk_mov_b32 v[20:21], v[10:11], v[10:11] op_sel:[0,1]
	s_mov_b64 s[60:61], 0
                                        ; implicit-def: $sgpr2_sgpr3
                                        ; implicit-def: $sgpr52_sgpr53
                                        ; implicit-def: $sgpr58_sgpr59
	s_branch .LBB17_34
.LBB17_33:                              ;   in Loop: Header=BB17_34 Depth=2
	s_or_b64 exec, exec, s[0:1]
	s_xor_b64 s[0:1], s[62:63], -1
	s_and_b64 s[62:63], exec, s[64:65]
	s_or_b64 s[56:57], s[62:63], s[56:57]
	s_andn2_b64 s[52:53], s[52:53], exec
	s_and_b64 s[62:63], s[58:59], exec
	s_andn2_b64 s[2:3], s[2:3], exec
	s_and_b64 s[0:1], s[0:1], exec
	s_or_b64 s[52:53], s[52:53], s[62:63]
	s_or_b64 s[2:3], s[2:3], s[0:1]
	s_andn2_b64 exec, exec, s[56:57]
	s_cbranch_execz .LBB17_45
.LBB17_34:                              ;   Parent Loop BB17_9 Depth=1
                                        ; =>  This Loop Header: Depth=2
                                        ;       Child Loop BB17_38 Depth 3
	s_andn2_b64 vcc, exec, s[28:29]
	s_mov_b64 s[64:65], -1
	s_cbranch_vccnz .LBB17_42
; %bb.35:                               ;   in Loop: Header=BB17_34 Depth=2
	s_mov_b64 s[68:69], 0
	v_pk_mov_b32 v[22:23], v[20:21], v[20:21] op_sel:[0,1]
	s_mov_b64 s[74:75], s[22:23]
                                        ; implicit-def: $sgpr66_sgpr67
                                        ; implicit-def: $sgpr62_sgpr63
                                        ; implicit-def: $sgpr70_sgpr71
                                        ; implicit-def: $sgpr72_sgpr73
	s_branch .LBB17_38
.LBB17_36:                              ;   in Loop: Header=BB17_38 Depth=3
	s_or_b64 exec, exec, s[80:81]
	s_andn2_b64 s[72:73], s[72:73], exec
	s_and_b64 s[80:81], s[82:83], exec
	s_andn2_b64 s[70:71], s[70:71], exec
	s_and_b64 s[0:1], s[0:1], exec
	v_mov_b32_e32 v26, 2
	s_or_b64 s[72:73], s[72:73], s[80:81]
	s_or_b64 s[70:71], s[70:71], s[0:1]
.LBB17_37:                              ;   in Loop: Header=BB17_38 Depth=3
	s_or_b64 exec, exec, s[78:79]
	s_xor_b64 s[0:1], s[72:73], -1
	s_and_b64 s[78:79], exec, s[70:71]
	s_or_b64 s[68:69], s[78:79], s[68:69]
	s_andn2_b64 s[62:63], s[62:63], exec
	s_and_b64 s[76:77], s[76:77], exec
	s_andn2_b64 s[66:67], s[66:67], exec
	s_and_b64 s[0:1], s[0:1], exec
	s_or_b64 s[62:63], s[62:63], s[76:77]
	s_or_b64 s[66:67], s[66:67], s[0:1]
	s_andn2_b64 exec, exec, s[68:69]
	s_cbranch_execz .LBB17_41
.LBB17_38:                              ;   Parent Loop BB17_9 Depth=1
                                        ;     Parent Loop BB17_34 Depth=2
                                        ; =>    This Inner Loop Header: Depth=3
	global_load_dwordx4 v[0:3], v[22:23], off offset:-8
	s_mov_b64 s[76:77], -1
	v_mov_b32_e32 v26, 1
	s_or_b64 s[72:73], s[72:73], exec
	s_or_b64 s[70:71], s[70:71], exec
	s_waitcnt vmcnt(0)
	v_cmp_neq_f64_e32 vcc, s[40:41], v[0:1]
	v_cmp_neq_f64_e64 s[0:1], s[40:41], v[2:3]
	s_and_b64 s[0:1], vcc, s[0:1]
	s_and_saveexec_b64 s[78:79], s[0:1]
	s_xor_b64 s[78:79], exec, s[78:79]
	s_cbranch_execz .LBB17_37
; %bb.39:                               ;   in Loop: Header=BB17_38 Depth=3
	v_cmp_o_f64_e32 vcc, v[0:1], v[0:1]
	v_cmp_o_f64_e64 s[0:1], v[2:3], v[2:3]
	s_and_b64 s[88:89], vcc, s[0:1]
	s_mov_b64 s[0:1], -1
	s_mov_b64 s[82:83], -1
	s_and_saveexec_b64 s[80:81], s[88:89]
	s_cbranch_execz .LBB17_36
; %bb.40:                               ;   in Loop: Header=BB17_38 Depth=3
	s_add_u32 s74, s74, -1
	s_addc_u32 s75, s75, -1
	s_cmp_eq_u64 s[74:75], 0
	v_add_co_u32_e32 v22, vcc, 16, v22
	s_cselect_b64 s[0:1], -1, 0
	v_addc_co_u32_e32 v23, vcc, 0, v23, vcc
	s_xor_b64 s[82:83], exec, -1
	s_orn2_b64 s[0:1], s[0:1], exec
	s_branch .LBB17_36
.LBB17_41:                              ;   in Loop: Header=BB17_34 Depth=2
	s_or_b64 exec, exec, s[68:69]
	s_branch .LBB17_43
.LBB17_42:                              ;   in Loop: Header=BB17_34 Depth=2
	s_mov_b64 s[66:67], -1
                                        ; implicit-def: $sgpr62_sgpr63
                                        ; implicit-def: $vgpr26
.LBB17_43:                              ;   in Loop: Header=BB17_34 Depth=2
	s_andn2_b64 s[0:1], s[58:59], exec
	s_and_b64 s[58:59], s[62:63], exec
	s_or_b64 s[58:59], s[0:1], s[58:59]
	s_and_saveexec_b64 s[0:1], s[66:67]
	s_cbranch_execz .LBB17_33
; %bb.44:                               ;   in Loop: Header=BB17_34 Depth=2
	s_add_u32 s60, s60, 1
	s_addc_u32 s61, s61, 0
	s_cmp_eq_u64 s[60:61], s[20:21]
	v_mov_b32_e32 v0, s37
	v_add_co_u32_e32 v20, vcc, s36, v20
	s_cselect_b64 s[64:65], -1, 0
	v_addc_co_u32_e32 v21, vcc, v21, v0, vcc
	s_andn2_b64 s[62:63], s[62:63], exec
	s_andn2_b64 s[58:59], s[58:59], exec
	s_orn2_b64 s[64:65], s[64:65], exec
                                        ; implicit-def: $vgpr26
	s_branch .LBB17_33
.LBB17_45:                              ;   in Loop: Header=BB17_9 Depth=1
	s_or_b64 exec, exec, s[56:57]
.LBB17_46:                              ;   in Loop: Header=BB17_9 Depth=1
	s_mov_b64 s[0:1], -1
	s_and_saveexec_b64 s[56:57], s[2:3]
	s_cbranch_execz .LBB17_6
.LBB17_47:                              ;   in Loop: Header=BB17_9 Depth=1
	s_and_b64 vcc, exec, s[12:13]
	s_cbranch_vccz .LBB17_51
; %bb.48:                               ;   in Loop: Header=BB17_9 Depth=1
	s_and_b64 vcc, exec, s[30:31]
	s_cbranch_vccz .LBB17_52
; %bb.49:                               ;   in Loop: Header=BB17_9 Depth=1
	v_cmp_ge_i64_e32 vcc, v[18:19], v[4:5]
	v_mov_b32_e32 v26, 7
	s_or_b64 s[58:59], s[52:53], exec
	s_and_b64 s[2:3], vcc, exec
	s_cbranch_execz .LBB17_53
	s_branch .LBB17_54
.LBB17_50:                              ;   in Loop: Header=BB17_9 Depth=1
	s_mov_b64 s[2:3], -1
	s_mov_b64 s[0:1], -1
	s_and_saveexec_b64 s[56:57], s[2:3]
	s_cbranch_execz .LBB17_6
	s_branch .LBB17_47
.LBB17_51:                              ;   in Loop: Header=BB17_9 Depth=1
	s_mov_b64 s[2:3], -1
	s_mov_b64 s[58:59], s[52:53]
	s_branch .LBB17_54
.LBB17_52:                              ;   in Loop: Header=BB17_9 Depth=1
	s_mov_b64 s[2:3], 0
	s_mov_b64 s[58:59], s[52:53]
.LBB17_53:                              ;   in Loop: Header=BB17_9 Depth=1
	v_cmp_le_i64_e32 vcc, v[18:19], v[4:5]
	s_andn2_b64 s[2:3], s[2:3], exec
	s_and_b64 s[60:61], vcc, exec
	v_mov_b32_e32 v26, 7
	s_or_b64 s[58:59], s[58:59], exec
	s_or_b64 s[2:3], s[2:3], s[60:61]
.LBB17_54:                              ;   in Loop: Header=BB17_9 Depth=1
	s_and_saveexec_b64 s[60:61], s[2:3]
	s_cbranch_execz .LBB17_5
; %bb.55:                               ;   in Loop: Header=BB17_9 Depth=1
	s_or_b64 s[62:63], s[14:15], s[54:55]
	s_xor_b64 s[0:1], s[62:63], -1
	s_mov_b64 s[54:55], s[58:59]
	s_and_saveexec_b64 s[64:65], s[0:1]
	s_cbranch_execz .LBB17_57
; %bb.56:                               ;   in Loop: Header=BB17_9 Depth=1
	global_load_dwordx2 v[0:1], v[16:17], off offset:-8
	v_mov_b32_e32 v3, s33
	v_mov_b32_e32 v26, 6
	s_or_b64 s[54:55], s[58:59], exec
	s_waitcnt vmcnt(0)
	v_subrev_co_u32_e32 v2, vcc, s84, v0
	v_subb_co_u32_e32 v3, vcc, v1, v3, vcc
	v_cmp_lt_i64_e64 s[0:1], -1, v[2:3]
	v_cmp_gt_i64_e64 s[2:3], s[18:19], v[2:3]
	s_and_b64 s[0:1], s[0:1], s[2:3]
	v_cmp_gt_i64_e32 vcc, v[14:15], v[0:1]
	s_xor_b64 s[0:1], s[0:1], -1
	s_or_b64 s[0:1], vcc, s[0:1]
	s_andn2_b64 s[2:3], s[62:63], exec
	s_and_b64 s[0:1], s[0:1], exec
	s_or_b64 s[62:63], s[2:3], s[0:1]
.LBB17_57:                              ;   in Loop: Header=BB17_9 Depth=1
	s_or_b64 exec, exec, s[64:65]
	s_mov_b64 s[0:1], -1
	s_and_saveexec_b64 s[2:3], s[62:63]
	s_cbranch_execz .LBB17_4
; %bb.58:                               ;   in Loop: Header=BB17_9 Depth=1
	v_add_co_u32_e32 v12, vcc, 1, v12
	v_addc_co_u32_e32 v13, vcc, 0, v13, vcc
	v_mov_b32_e32 v0, s11
	v_add_co_u32_e32 v10, vcc, s10, v10
	v_addc_co_u32_e32 v11, vcc, v11, v0, vcc
	v_cmp_ge_i64_e32 vcc, v[12:13], v[8:9]
	s_andn2_b64 s[54:55], s[54:55], exec
	s_orn2_b64 s[0:1], vcc, exec
                                        ; implicit-def: $vgpr26
	s_branch .LBB17_4
.LBB17_59:
	s_or_b64 exec, exec, s[24:25]
	s_and_b64 s[8:9], s[42:43], exec
.LBB17_60:
	s_or_b64 exec, exec, s[16:17]
	s_orn2_b64 s[10:11], s[8:9], exec
.LBB17_61:
	s_or_b64 exec, exec, s[6:7]
	s_and_b64 exec, exec, s[10:11]
	s_cbranch_execz .LBB17_63
; %bb.62:
	s_load_dwordx2 s[0:1], s[4:5], 0x60
	v_mov_b32_e32 v0, 0
	s_waitcnt lgkmcnt(0)
	global_store_dword v0, v26, s[0:1]
.LBB17_63:
	s_endpgm
	.section	.rodata,"a",@progbits
	.p2align	6, 0x0
	.amdhsa_kernel _ZN9rocsparseL25check_matrix_gebsr_deviceILj256E21rocsparse_complex_numIdEllEEv20rocsparse_direction_T2_S4_T1_S4_S4_PKT0_PKS5_PKS4_SC_21rocsparse_index_base_22rocsparse_matrix_type_20rocsparse_fill_mode_23rocsparse_storage_mode_P22rocsparse_data_status_
		.amdhsa_group_segment_fixed_size 0
		.amdhsa_private_segment_fixed_size 0
		.amdhsa_kernarg_size 104
		.amdhsa_user_sgpr_count 6
		.amdhsa_user_sgpr_private_segment_buffer 1
		.amdhsa_user_sgpr_dispatch_ptr 0
		.amdhsa_user_sgpr_queue_ptr 0
		.amdhsa_user_sgpr_kernarg_segment_ptr 1
		.amdhsa_user_sgpr_dispatch_id 0
		.amdhsa_user_sgpr_flat_scratch_init 0
		.amdhsa_user_sgpr_kernarg_preload_length 0
		.amdhsa_user_sgpr_kernarg_preload_offset 0
		.amdhsa_user_sgpr_private_segment_size 0
		.amdhsa_uses_dynamic_stack 0
		.amdhsa_system_sgpr_private_segment_wavefront_offset 0
		.amdhsa_system_sgpr_workgroup_id_x 1
		.amdhsa_system_sgpr_workgroup_id_y 0
		.amdhsa_system_sgpr_workgroup_id_z 0
		.amdhsa_system_sgpr_workgroup_info 0
		.amdhsa_system_vgpr_workitem_id 0
		.amdhsa_next_free_vgpr 27
		.amdhsa_next_free_sgpr 90
		.amdhsa_accum_offset 28
		.amdhsa_reserve_vcc 1
		.amdhsa_reserve_flat_scratch 0
		.amdhsa_float_round_mode_32 0
		.amdhsa_float_round_mode_16_64 0
		.amdhsa_float_denorm_mode_32 3
		.amdhsa_float_denorm_mode_16_64 3
		.amdhsa_dx10_clamp 1
		.amdhsa_ieee_mode 1
		.amdhsa_fp16_overflow 0
		.amdhsa_tg_split 0
		.amdhsa_exception_fp_ieee_invalid_op 0
		.amdhsa_exception_fp_denorm_src 0
		.amdhsa_exception_fp_ieee_div_zero 0
		.amdhsa_exception_fp_ieee_overflow 0
		.amdhsa_exception_fp_ieee_underflow 0
		.amdhsa_exception_fp_ieee_inexact 0
		.amdhsa_exception_int_div_zero 0
	.end_amdhsa_kernel
	.section	.text._ZN9rocsparseL25check_matrix_gebsr_deviceILj256E21rocsparse_complex_numIdEllEEv20rocsparse_direction_T2_S4_T1_S4_S4_PKT0_PKS5_PKS4_SC_21rocsparse_index_base_22rocsparse_matrix_type_20rocsparse_fill_mode_23rocsparse_storage_mode_P22rocsparse_data_status_,"axG",@progbits,_ZN9rocsparseL25check_matrix_gebsr_deviceILj256E21rocsparse_complex_numIdEllEEv20rocsparse_direction_T2_S4_T1_S4_S4_PKT0_PKS5_PKS4_SC_21rocsparse_index_base_22rocsparse_matrix_type_20rocsparse_fill_mode_23rocsparse_storage_mode_P22rocsparse_data_status_,comdat
.Lfunc_end17:
	.size	_ZN9rocsparseL25check_matrix_gebsr_deviceILj256E21rocsparse_complex_numIdEllEEv20rocsparse_direction_T2_S4_T1_S4_S4_PKT0_PKS5_PKS4_SC_21rocsparse_index_base_22rocsparse_matrix_type_20rocsparse_fill_mode_23rocsparse_storage_mode_P22rocsparse_data_status_, .Lfunc_end17-_ZN9rocsparseL25check_matrix_gebsr_deviceILj256E21rocsparse_complex_numIdEllEEv20rocsparse_direction_T2_S4_T1_S4_S4_PKT0_PKS5_PKS4_SC_21rocsparse_index_base_22rocsparse_matrix_type_20rocsparse_fill_mode_23rocsparse_storage_mode_P22rocsparse_data_status_
                                        ; -- End function
	.section	.AMDGPU.csdata,"",@progbits
; Kernel info:
; codeLenInByte = 1876
; NumSgprs: 94
; NumVgprs: 27
; NumAgprs: 0
; TotalNumVgprs: 27
; ScratchSize: 0
; MemoryBound: 0
; FloatMode: 240
; IeeeMode: 1
; LDSByteSize: 0 bytes/workgroup (compile time only)
; SGPRBlocks: 11
; VGPRBlocks: 3
; NumSGPRsForWavesPerEU: 94
; NumVGPRsForWavesPerEU: 27
; AccumOffset: 28
; Occupancy: 8
; WaveLimiterHint : 0
; COMPUTE_PGM_RSRC2:SCRATCH_EN: 0
; COMPUTE_PGM_RSRC2:USER_SGPR: 6
; COMPUTE_PGM_RSRC2:TRAP_HANDLER: 0
; COMPUTE_PGM_RSRC2:TGID_X_EN: 1
; COMPUTE_PGM_RSRC2:TGID_Y_EN: 0
; COMPUTE_PGM_RSRC2:TGID_Z_EN: 0
; COMPUTE_PGM_RSRC2:TIDIG_COMP_CNT: 0
; COMPUTE_PGM_RSRC3_GFX90A:ACCUM_OFFSET: 6
; COMPUTE_PGM_RSRC3_GFX90A:TG_SPLIT: 0
	.text
	.p2alignl 6, 3212836864
	.fill 256, 4, 3212836864
	.type	__hip_cuid_31c4dcd8a6597dc4,@object ; @__hip_cuid_31c4dcd8a6597dc4
	.section	.bss,"aw",@nobits
	.globl	__hip_cuid_31c4dcd8a6597dc4
__hip_cuid_31c4dcd8a6597dc4:
	.byte	0                               ; 0x0
	.size	__hip_cuid_31c4dcd8a6597dc4, 1

	.ident	"AMD clang version 19.0.0git (https://github.com/RadeonOpenCompute/llvm-project roc-6.4.0 25133 c7fe45cf4b819c5991fe208aaa96edf142730f1d)"
	.section	".note.GNU-stack","",@progbits
	.addrsig
	.addrsig_sym __hip_cuid_31c4dcd8a6597dc4
	.amdgpu_metadata
---
amdhsa.kernels:
  - .agpr_count:     0
    .args:
      - .offset:         0
        .size:           4
        .value_kind:     by_value
      - .actual_access:  read_only
        .address_space:  global
        .offset:         8
        .size:           8
        .value_kind:     global_buffer
      - .address_space:  global
        .offset:         16
        .size:           8
        .value_kind:     global_buffer
    .group_segment_fixed_size: 0
    .kernarg_segment_align: 8
    .kernarg_segment_size: 24
    .language:       OpenCL C
    .language_version:
      - 2
      - 0
    .max_flat_workgroup_size: 256
    .name:           _ZN9rocsparseL19check_row_ptr_arrayILj256EiiEEvT1_PKT0_P22rocsparse_data_status_
    .private_segment_fixed_size: 0
    .sgpr_count:     11
    .sgpr_spill_count: 0
    .symbol:         _ZN9rocsparseL19check_row_ptr_arrayILj256EiiEEvT1_PKT0_P22rocsparse_data_status_.kd
    .uniform_work_group_size: 1
    .uses_dynamic_stack: false
    .vgpr_count:     3
    .vgpr_spill_count: 0
    .wavefront_size: 64
  - .agpr_count:     0
    .args:
      - .offset:         0
        .size:           4
        .value_kind:     by_value
      - .actual_access:  read_only
        .address_space:  global
        .offset:         8
        .size:           8
        .value_kind:     global_buffer
      - .actual_access:  write_only
        .address_space:  global
        .offset:         16
        .size:           8
        .value_kind:     global_buffer
    .group_segment_fixed_size: 0
    .kernarg_segment_align: 8
    .kernarg_segment_size: 24
    .language:       OpenCL C
    .language_version:
      - 2
      - 0
    .max_flat_workgroup_size: 512
    .name:           _ZN9rocsparseL20shift_offsets_kernelILj512EiiEEvT1_PKT0_PS2_
    .private_segment_fixed_size: 0
    .sgpr_count:     11
    .sgpr_spill_count: 0
    .symbol:         _ZN9rocsparseL20shift_offsets_kernelILj512EiiEEvT1_PKT0_PS2_.kd
    .uniform_work_group_size: 1
    .uses_dynamic_stack: false
    .vgpr_count:     4
    .vgpr_spill_count: 0
    .wavefront_size: 64
  - .agpr_count:     0
    .args:
      - .offset:         0
        .size:           4
        .value_kind:     by_value
      - .offset:         4
        .size:           4
        .value_kind:     by_value
      - .offset:         8
        .size:           4
        .value_kind:     by_value
      - .offset:         12
        .size:           4
        .value_kind:     by_value
      - .offset:         16
        .size:           4
        .value_kind:     by_value
      - .offset:         20
        .size:           4
        .value_kind:     by_value
      - .actual_access:  read_only
        .address_space:  global
        .offset:         24
        .size:           8
        .value_kind:     global_buffer
      - .actual_access:  read_only
        .address_space:  global
        .offset:         32
        .size:           8
        .value_kind:     global_buffer
      - .address_space:  global
        .offset:         40
        .size:           8
        .value_kind:     global_buffer
      - .address_space:  global
        .offset:         48
        .size:           8
        .value_kind:     global_buffer
      - .offset:         56
        .size:           4
        .value_kind:     by_value
      - .offset:         60
        .size:           4
        .value_kind:     by_value
      - .offset:         64
        .size:           4
        .value_kind:     by_value
      - .offset:         68
        .size:           4
        .value_kind:     by_value
      - .address_space:  global
        .offset:         72
        .size:           8
        .value_kind:     global_buffer
    .group_segment_fixed_size: 0
    .kernarg_segment_align: 8
    .kernarg_segment_size: 80
    .language:       OpenCL C
    .language_version:
      - 2
      - 0
    .max_flat_workgroup_size: 256
    .name:           _ZN9rocsparseL25check_matrix_gebsr_deviceILj256EfiiEEv20rocsparse_direction_T2_S2_T1_S2_S2_PKT0_PKS3_PKS2_SA_21rocsparse_index_base_22rocsparse_matrix_type_20rocsparse_fill_mode_23rocsparse_storage_mode_P22rocsparse_data_status_
    .private_segment_fixed_size: 0
    .sgpr_count:     83
    .sgpr_spill_count: 0
    .symbol:         _ZN9rocsparseL25check_matrix_gebsr_deviceILj256EfiiEEv20rocsparse_direction_T2_S2_T1_S2_S2_PKT0_PKS3_PKS2_SA_21rocsparse_index_base_22rocsparse_matrix_type_20rocsparse_fill_mode_23rocsparse_storage_mode_P22rocsparse_data_status_.kd
    .uniform_work_group_size: 1
    .uses_dynamic_stack: false
    .vgpr_count:     16
    .vgpr_spill_count: 0
    .wavefront_size: 64
  - .agpr_count:     0
    .args:
      - .offset:         0
        .size:           4
        .value_kind:     by_value
      - .offset:         4
        .size:           4
        .value_kind:     by_value
      - .offset:         8
        .size:           4
        .value_kind:     by_value
      - .offset:         12
        .size:           4
        .value_kind:     by_value
      - .offset:         16
        .size:           4
        .value_kind:     by_value
      - .offset:         20
        .size:           4
        .value_kind:     by_value
      - .actual_access:  read_only
        .address_space:  global
        .offset:         24
        .size:           8
        .value_kind:     global_buffer
      - .actual_access:  read_only
        .address_space:  global
        .offset:         32
        .size:           8
        .value_kind:     global_buffer
      - .address_space:  global
        .offset:         40
        .size:           8
        .value_kind:     global_buffer
      - .address_space:  global
        .offset:         48
        .size:           8
        .value_kind:     global_buffer
      - .offset:         56
        .size:           4
        .value_kind:     by_value
      - .offset:         60
        .size:           4
        .value_kind:     by_value
      - .offset:         64
        .size:           4
        .value_kind:     by_value
      - .offset:         68
        .size:           4
        .value_kind:     by_value
      - .address_space:  global
        .offset:         72
        .size:           8
        .value_kind:     global_buffer
    .group_segment_fixed_size: 0
    .kernarg_segment_align: 8
    .kernarg_segment_size: 80
    .language:       OpenCL C
    .language_version:
      - 2
      - 0
    .max_flat_workgroup_size: 256
    .name:           _ZN9rocsparseL25check_matrix_gebsr_deviceILj256EdiiEEv20rocsparse_direction_T2_S2_T1_S2_S2_PKT0_PKS3_PKS2_SA_21rocsparse_index_base_22rocsparse_matrix_type_20rocsparse_fill_mode_23rocsparse_storage_mode_P22rocsparse_data_status_
    .private_segment_fixed_size: 0
    .sgpr_count:     84
    .sgpr_spill_count: 0
    .symbol:         _ZN9rocsparseL25check_matrix_gebsr_deviceILj256EdiiEEv20rocsparse_direction_T2_S2_T1_S2_S2_PKT0_PKS3_PKS2_SA_21rocsparse_index_base_22rocsparse_matrix_type_20rocsparse_fill_mode_23rocsparse_storage_mode_P22rocsparse_data_status_.kd
    .uniform_work_group_size: 1
    .uses_dynamic_stack: false
    .vgpr_count:     17
    .vgpr_spill_count: 0
    .wavefront_size: 64
  - .agpr_count:     0
    .args:
      - .offset:         0
        .size:           4
        .value_kind:     by_value
      - .offset:         4
        .size:           4
        .value_kind:     by_value
      - .offset:         8
        .size:           4
        .value_kind:     by_value
      - .offset:         12
        .size:           4
        .value_kind:     by_value
      - .offset:         16
        .size:           4
        .value_kind:     by_value
      - .offset:         20
        .size:           4
        .value_kind:     by_value
      - .actual_access:  read_only
        .address_space:  global
        .offset:         24
        .size:           8
        .value_kind:     global_buffer
      - .actual_access:  read_only
        .address_space:  global
        .offset:         32
        .size:           8
        .value_kind:     global_buffer
      - .address_space:  global
        .offset:         40
        .size:           8
        .value_kind:     global_buffer
      - .address_space:  global
        .offset:         48
        .size:           8
        .value_kind:     global_buffer
      - .offset:         56
        .size:           4
        .value_kind:     by_value
      - .offset:         60
        .size:           4
        .value_kind:     by_value
      - .offset:         64
        .size:           4
        .value_kind:     by_value
      - .offset:         68
        .size:           4
        .value_kind:     by_value
      - .address_space:  global
        .offset:         72
        .size:           8
        .value_kind:     global_buffer
    .group_segment_fixed_size: 0
    .kernarg_segment_align: 8
    .kernarg_segment_size: 80
    .language:       OpenCL C
    .language_version:
      - 2
      - 0
    .max_flat_workgroup_size: 256
    .name:           _ZN9rocsparseL25check_matrix_gebsr_deviceILj256E21rocsparse_complex_numIfEiiEEv20rocsparse_direction_T2_S4_T1_S4_S4_PKT0_PKS5_PKS4_SC_21rocsparse_index_base_22rocsparse_matrix_type_20rocsparse_fill_mode_23rocsparse_storage_mode_P22rocsparse_data_status_
    .private_segment_fixed_size: 0
    .sgpr_count:     88
    .sgpr_spill_count: 0
    .symbol:         _ZN9rocsparseL25check_matrix_gebsr_deviceILj256E21rocsparse_complex_numIfEiiEEv20rocsparse_direction_T2_S4_T1_S4_S4_PKT0_PKS5_PKS4_SC_21rocsparse_index_base_22rocsparse_matrix_type_20rocsparse_fill_mode_23rocsparse_storage_mode_P22rocsparse_data_status_.kd
    .uniform_work_group_size: 1
    .uses_dynamic_stack: false
    .vgpr_count:     16
    .vgpr_spill_count: 0
    .wavefront_size: 64
  - .agpr_count:     0
    .args:
      - .offset:         0
        .size:           4
        .value_kind:     by_value
      - .offset:         4
        .size:           4
        .value_kind:     by_value
      - .offset:         8
        .size:           4
        .value_kind:     by_value
      - .offset:         12
        .size:           4
        .value_kind:     by_value
      - .offset:         16
        .size:           4
        .value_kind:     by_value
      - .offset:         20
        .size:           4
        .value_kind:     by_value
      - .actual_access:  read_only
        .address_space:  global
        .offset:         24
        .size:           8
        .value_kind:     global_buffer
      - .actual_access:  read_only
        .address_space:  global
        .offset:         32
        .size:           8
        .value_kind:     global_buffer
      - .address_space:  global
        .offset:         40
        .size:           8
        .value_kind:     global_buffer
      - .address_space:  global
        .offset:         48
        .size:           8
        .value_kind:     global_buffer
      - .offset:         56
        .size:           4
        .value_kind:     by_value
      - .offset:         60
        .size:           4
        .value_kind:     by_value
      - .offset:         64
        .size:           4
        .value_kind:     by_value
      - .offset:         68
        .size:           4
        .value_kind:     by_value
      - .address_space:  global
        .offset:         72
        .size:           8
        .value_kind:     global_buffer
    .group_segment_fixed_size: 0
    .kernarg_segment_align: 8
    .kernarg_segment_size: 80
    .language:       OpenCL C
    .language_version:
      - 2
      - 0
    .max_flat_workgroup_size: 256
    .name:           _ZN9rocsparseL25check_matrix_gebsr_deviceILj256E21rocsparse_complex_numIdEiiEEv20rocsparse_direction_T2_S4_T1_S4_S4_PKT0_PKS5_PKS4_SC_21rocsparse_index_base_22rocsparse_matrix_type_20rocsparse_fill_mode_23rocsparse_storage_mode_P22rocsparse_data_status_
    .private_segment_fixed_size: 0
    .sgpr_count:     88
    .sgpr_spill_count: 0
    .symbol:         _ZN9rocsparseL25check_matrix_gebsr_deviceILj256E21rocsparse_complex_numIdEiiEEv20rocsparse_direction_T2_S4_T1_S4_S4_PKT0_PKS5_PKS4_SC_21rocsparse_index_base_22rocsparse_matrix_type_20rocsparse_fill_mode_23rocsparse_storage_mode_P22rocsparse_data_status_.kd
    .uniform_work_group_size: 1
    .uses_dynamic_stack: false
    .vgpr_count:     17
    .vgpr_spill_count: 0
    .wavefront_size: 64
  - .agpr_count:     0
    .args:
      - .offset:         0
        .size:           4
        .value_kind:     by_value
      - .actual_access:  read_only
        .address_space:  global
        .offset:         8
        .size:           8
        .value_kind:     global_buffer
      - .address_space:  global
        .offset:         16
        .size:           8
        .value_kind:     global_buffer
    .group_segment_fixed_size: 0
    .kernarg_segment_align: 8
    .kernarg_segment_size: 24
    .language:       OpenCL C
    .language_version:
      - 2
      - 0
    .max_flat_workgroup_size: 256
    .name:           _ZN9rocsparseL19check_row_ptr_arrayILj256EliEEvT1_PKT0_P22rocsparse_data_status_
    .private_segment_fixed_size: 0
    .sgpr_count:     11
    .sgpr_spill_count: 0
    .symbol:         _ZN9rocsparseL19check_row_ptr_arrayILj256EliEEvT1_PKT0_P22rocsparse_data_status_.kd
    .uniform_work_group_size: 1
    .uses_dynamic_stack: false
    .vgpr_count:     4
    .vgpr_spill_count: 0
    .wavefront_size: 64
  - .agpr_count:     0
    .args:
      - .offset:         0
        .size:           4
        .value_kind:     by_value
      - .actual_access:  read_only
        .address_space:  global
        .offset:         8
        .size:           8
        .value_kind:     global_buffer
      - .actual_access:  write_only
        .address_space:  global
        .offset:         16
        .size:           8
        .value_kind:     global_buffer
    .group_segment_fixed_size: 0
    .kernarg_segment_align: 8
    .kernarg_segment_size: 24
    .language:       OpenCL C
    .language_version:
      - 2
      - 0
    .max_flat_workgroup_size: 512
    .name:           _ZN9rocsparseL20shift_offsets_kernelILj512EliEEvT1_PKT0_PS2_
    .private_segment_fixed_size: 0
    .sgpr_count:     11
    .sgpr_spill_count: 0
    .symbol:         _ZN9rocsparseL20shift_offsets_kernelILj512EliEEvT1_PKT0_PS2_.kd
    .uniform_work_group_size: 1
    .uses_dynamic_stack: false
    .vgpr_count:     5
    .vgpr_spill_count: 0
    .wavefront_size: 64
  - .agpr_count:     0
    .args:
      - .offset:         0
        .size:           4
        .value_kind:     by_value
      - .offset:         4
        .size:           4
        .value_kind:     by_value
      - .offset:         8
        .size:           4
        .value_kind:     by_value
      - .offset:         16
        .size:           8
        .value_kind:     by_value
      - .offset:         24
        .size:           4
        .value_kind:     by_value
      - .offset:         28
        .size:           4
        .value_kind:     by_value
      - .actual_access:  read_only
        .address_space:  global
        .offset:         32
        .size:           8
        .value_kind:     global_buffer
      - .actual_access:  read_only
        .address_space:  global
        .offset:         40
        .size:           8
        .value_kind:     global_buffer
      - .address_space:  global
        .offset:         48
        .size:           8
        .value_kind:     global_buffer
      - .address_space:  global
        .offset:         56
        .size:           8
        .value_kind:     global_buffer
      - .offset:         64
        .size:           4
        .value_kind:     by_value
      - .offset:         68
        .size:           4
        .value_kind:     by_value
      - .offset:         72
        .size:           4
        .value_kind:     by_value
      - .offset:         76
        .size:           4
        .value_kind:     by_value
      - .address_space:  global
        .offset:         80
        .size:           8
        .value_kind:     global_buffer
    .group_segment_fixed_size: 0
    .kernarg_segment_align: 8
    .kernarg_segment_size: 88
    .language:       OpenCL C
    .language_version:
      - 2
      - 0
    .max_flat_workgroup_size: 256
    .name:           _ZN9rocsparseL25check_matrix_gebsr_deviceILj256EfliEEv20rocsparse_direction_T2_S2_T1_S2_S2_PKT0_PKS3_PKS2_SA_21rocsparse_index_base_22rocsparse_matrix_type_20rocsparse_fill_mode_23rocsparse_storage_mode_P22rocsparse_data_status_
    .private_segment_fixed_size: 0
    .sgpr_count:     83
    .sgpr_spill_count: 0
    .symbol:         _ZN9rocsparseL25check_matrix_gebsr_deviceILj256EfliEEv20rocsparse_direction_T2_S2_T1_S2_S2_PKT0_PKS3_PKS2_SA_21rocsparse_index_base_22rocsparse_matrix_type_20rocsparse_fill_mode_23rocsparse_storage_mode_P22rocsparse_data_status_.kd
    .uniform_work_group_size: 1
    .uses_dynamic_stack: false
    .vgpr_count:     18
    .vgpr_spill_count: 0
    .wavefront_size: 64
  - .agpr_count:     0
    .args:
      - .offset:         0
        .size:           4
        .value_kind:     by_value
      - .offset:         4
        .size:           4
        .value_kind:     by_value
      - .offset:         8
        .size:           4
        .value_kind:     by_value
      - .offset:         16
        .size:           8
        .value_kind:     by_value
      - .offset:         24
        .size:           4
        .value_kind:     by_value
      - .offset:         28
        .size:           4
        .value_kind:     by_value
      - .actual_access:  read_only
        .address_space:  global
        .offset:         32
        .size:           8
        .value_kind:     global_buffer
      - .actual_access:  read_only
        .address_space:  global
        .offset:         40
        .size:           8
        .value_kind:     global_buffer
      - .address_space:  global
        .offset:         48
        .size:           8
        .value_kind:     global_buffer
      - .address_space:  global
        .offset:         56
        .size:           8
        .value_kind:     global_buffer
      - .offset:         64
        .size:           4
        .value_kind:     by_value
      - .offset:         68
        .size:           4
        .value_kind:     by_value
      - .offset:         72
        .size:           4
        .value_kind:     by_value
      - .offset:         76
        .size:           4
        .value_kind:     by_value
      - .address_space:  global
        .offset:         80
        .size:           8
        .value_kind:     global_buffer
    .group_segment_fixed_size: 0
    .kernarg_segment_align: 8
    .kernarg_segment_size: 88
    .language:       OpenCL C
    .language_version:
      - 2
      - 0
    .max_flat_workgroup_size: 256
    .name:           _ZN9rocsparseL25check_matrix_gebsr_deviceILj256EdliEEv20rocsparse_direction_T2_S2_T1_S2_S2_PKT0_PKS3_PKS2_SA_21rocsparse_index_base_22rocsparse_matrix_type_20rocsparse_fill_mode_23rocsparse_storage_mode_P22rocsparse_data_status_
    .private_segment_fixed_size: 0
    .sgpr_count:     84
    .sgpr_spill_count: 0
    .symbol:         _ZN9rocsparseL25check_matrix_gebsr_deviceILj256EdliEEv20rocsparse_direction_T2_S2_T1_S2_S2_PKT0_PKS3_PKS2_SA_21rocsparse_index_base_22rocsparse_matrix_type_20rocsparse_fill_mode_23rocsparse_storage_mode_P22rocsparse_data_status_.kd
    .uniform_work_group_size: 1
    .uses_dynamic_stack: false
    .vgpr_count:     19
    .vgpr_spill_count: 0
    .wavefront_size: 64
  - .agpr_count:     0
    .args:
      - .offset:         0
        .size:           4
        .value_kind:     by_value
      - .offset:         4
        .size:           4
        .value_kind:     by_value
      - .offset:         8
        .size:           4
        .value_kind:     by_value
      - .offset:         16
        .size:           8
        .value_kind:     by_value
      - .offset:         24
        .size:           4
        .value_kind:     by_value
      - .offset:         28
        .size:           4
        .value_kind:     by_value
      - .actual_access:  read_only
        .address_space:  global
        .offset:         32
        .size:           8
        .value_kind:     global_buffer
      - .actual_access:  read_only
        .address_space:  global
        .offset:         40
        .size:           8
        .value_kind:     global_buffer
      - .address_space:  global
        .offset:         48
        .size:           8
        .value_kind:     global_buffer
      - .address_space:  global
        .offset:         56
        .size:           8
        .value_kind:     global_buffer
      - .offset:         64
        .size:           4
        .value_kind:     by_value
      - .offset:         68
        .size:           4
        .value_kind:     by_value
      - .offset:         72
        .size:           4
        .value_kind:     by_value
      - .offset:         76
        .size:           4
        .value_kind:     by_value
      - .address_space:  global
        .offset:         80
        .size:           8
        .value_kind:     global_buffer
    .group_segment_fixed_size: 0
    .kernarg_segment_align: 8
    .kernarg_segment_size: 88
    .language:       OpenCL C
    .language_version:
      - 2
      - 0
    .max_flat_workgroup_size: 256
    .name:           _ZN9rocsparseL25check_matrix_gebsr_deviceILj256E21rocsparse_complex_numIfEliEEv20rocsparse_direction_T2_S4_T1_S4_S4_PKT0_PKS5_PKS4_SC_21rocsparse_index_base_22rocsparse_matrix_type_20rocsparse_fill_mode_23rocsparse_storage_mode_P22rocsparse_data_status_
    .private_segment_fixed_size: 0
    .sgpr_count:     88
    .sgpr_spill_count: 0
    .symbol:         _ZN9rocsparseL25check_matrix_gebsr_deviceILj256E21rocsparse_complex_numIfEliEEv20rocsparse_direction_T2_S4_T1_S4_S4_PKT0_PKS5_PKS4_SC_21rocsparse_index_base_22rocsparse_matrix_type_20rocsparse_fill_mode_23rocsparse_storage_mode_P22rocsparse_data_status_.kd
    .uniform_work_group_size: 1
    .uses_dynamic_stack: false
    .vgpr_count:     18
    .vgpr_spill_count: 0
    .wavefront_size: 64
  - .agpr_count:     0
    .args:
      - .offset:         0
        .size:           4
        .value_kind:     by_value
      - .offset:         4
        .size:           4
        .value_kind:     by_value
      - .offset:         8
        .size:           4
        .value_kind:     by_value
      - .offset:         16
        .size:           8
        .value_kind:     by_value
      - .offset:         24
        .size:           4
        .value_kind:     by_value
      - .offset:         28
        .size:           4
        .value_kind:     by_value
      - .actual_access:  read_only
        .address_space:  global
        .offset:         32
        .size:           8
        .value_kind:     global_buffer
      - .actual_access:  read_only
        .address_space:  global
        .offset:         40
        .size:           8
        .value_kind:     global_buffer
      - .address_space:  global
        .offset:         48
        .size:           8
        .value_kind:     global_buffer
      - .address_space:  global
        .offset:         56
        .size:           8
        .value_kind:     global_buffer
      - .offset:         64
        .size:           4
        .value_kind:     by_value
      - .offset:         68
        .size:           4
        .value_kind:     by_value
      - .offset:         72
        .size:           4
        .value_kind:     by_value
      - .offset:         76
        .size:           4
        .value_kind:     by_value
      - .address_space:  global
        .offset:         80
        .size:           8
        .value_kind:     global_buffer
    .group_segment_fixed_size: 0
    .kernarg_segment_align: 8
    .kernarg_segment_size: 88
    .language:       OpenCL C
    .language_version:
      - 2
      - 0
    .max_flat_workgroup_size: 256
    .name:           _ZN9rocsparseL25check_matrix_gebsr_deviceILj256E21rocsparse_complex_numIdEliEEv20rocsparse_direction_T2_S4_T1_S4_S4_PKT0_PKS5_PKS4_SC_21rocsparse_index_base_22rocsparse_matrix_type_20rocsparse_fill_mode_23rocsparse_storage_mode_P22rocsparse_data_status_
    .private_segment_fixed_size: 0
    .sgpr_count:     88
    .sgpr_spill_count: 0
    .symbol:         _ZN9rocsparseL25check_matrix_gebsr_deviceILj256E21rocsparse_complex_numIdEliEEv20rocsparse_direction_T2_S4_T1_S4_S4_PKT0_PKS5_PKS4_SC_21rocsparse_index_base_22rocsparse_matrix_type_20rocsparse_fill_mode_23rocsparse_storage_mode_P22rocsparse_data_status_.kd
    .uniform_work_group_size: 1
    .uses_dynamic_stack: false
    .vgpr_count:     19
    .vgpr_spill_count: 0
    .wavefront_size: 64
  - .agpr_count:     0
    .args:
      - .offset:         0
        .size:           8
        .value_kind:     by_value
      - .actual_access:  read_only
        .address_space:  global
        .offset:         8
        .size:           8
        .value_kind:     global_buffer
      - .address_space:  global
        .offset:         16
        .size:           8
        .value_kind:     global_buffer
    .group_segment_fixed_size: 0
    .kernarg_segment_align: 8
    .kernarg_segment_size: 24
    .language:       OpenCL C
    .language_version:
      - 2
      - 0
    .max_flat_workgroup_size: 256
    .name:           _ZN9rocsparseL19check_row_ptr_arrayILj256EllEEvT1_PKT0_P22rocsparse_data_status_
    .private_segment_fixed_size: 0
    .sgpr_count:     11
    .sgpr_spill_count: 0
    .symbol:         _ZN9rocsparseL19check_row_ptr_arrayILj256EllEEvT1_PKT0_P22rocsparse_data_status_.kd
    .uniform_work_group_size: 1
    .uses_dynamic_stack: false
    .vgpr_count:     4
    .vgpr_spill_count: 0
    .wavefront_size: 64
  - .agpr_count:     0
    .args:
      - .offset:         0
        .size:           8
        .value_kind:     by_value
      - .actual_access:  read_only
        .address_space:  global
        .offset:         8
        .size:           8
        .value_kind:     global_buffer
      - .actual_access:  write_only
        .address_space:  global
        .offset:         16
        .size:           8
        .value_kind:     global_buffer
    .group_segment_fixed_size: 0
    .kernarg_segment_align: 8
    .kernarg_segment_size: 24
    .language:       OpenCL C
    .language_version:
      - 2
      - 0
    .max_flat_workgroup_size: 512
    .name:           _ZN9rocsparseL20shift_offsets_kernelILj512EllEEvT1_PKT0_PS2_
    .private_segment_fixed_size: 0
    .sgpr_count:     11
    .sgpr_spill_count: 0
    .symbol:         _ZN9rocsparseL20shift_offsets_kernelILj512EllEEvT1_PKT0_PS2_.kd
    .uniform_work_group_size: 1
    .uses_dynamic_stack: false
    .vgpr_count:     5
    .vgpr_spill_count: 0
    .wavefront_size: 64
  - .agpr_count:     0
    .args:
      - .offset:         0
        .size:           4
        .value_kind:     by_value
      - .offset:         8
        .size:           8
        .value_kind:     by_value
      - .offset:         16
        .size:           8
        .value_kind:     by_value
      - .offset:         24
        .size:           8
        .value_kind:     by_value
      - .offset:         32
        .size:           8
        .value_kind:     by_value
      - .offset:         40
        .size:           8
        .value_kind:     by_value
      - .actual_access:  read_only
        .address_space:  global
        .offset:         48
        .size:           8
        .value_kind:     global_buffer
      - .actual_access:  read_only
        .address_space:  global
        .offset:         56
        .size:           8
        .value_kind:     global_buffer
      - .address_space:  global
        .offset:         64
        .size:           8
        .value_kind:     global_buffer
      - .address_space:  global
        .offset:         72
        .size:           8
        .value_kind:     global_buffer
      - .offset:         80
        .size:           4
        .value_kind:     by_value
      - .offset:         84
        .size:           4
        .value_kind:     by_value
      - .offset:         88
        .size:           4
        .value_kind:     by_value
      - .offset:         92
        .size:           4
        .value_kind:     by_value
      - .address_space:  global
        .offset:         96
        .size:           8
        .value_kind:     global_buffer
    .group_segment_fixed_size: 0
    .kernarg_segment_align: 8
    .kernarg_segment_size: 104
    .language:       OpenCL C
    .language_version:
      - 2
      - 0
    .max_flat_workgroup_size: 256
    .name:           _ZN9rocsparseL25check_matrix_gebsr_deviceILj256EfllEEv20rocsparse_direction_T2_S2_T1_S2_S2_PKT0_PKS3_PKS2_SA_21rocsparse_index_base_22rocsparse_matrix_type_20rocsparse_fill_mode_23rocsparse_storage_mode_P22rocsparse_data_status_
    .private_segment_fixed_size: 0
    .sgpr_count:     89
    .sgpr_spill_count: 0
    .symbol:         _ZN9rocsparseL25check_matrix_gebsr_deviceILj256EfllEEv20rocsparse_direction_T2_S2_T1_S2_S2_PKT0_PKS3_PKS2_SA_21rocsparse_index_base_22rocsparse_matrix_type_20rocsparse_fill_mode_23rocsparse_storage_mode_P22rocsparse_data_status_.kd
    .uniform_work_group_size: 1
    .uses_dynamic_stack: false
    .vgpr_count:     26
    .vgpr_spill_count: 0
    .wavefront_size: 64
  - .agpr_count:     0
    .args:
      - .offset:         0
        .size:           4
        .value_kind:     by_value
      - .offset:         8
        .size:           8
        .value_kind:     by_value
      - .offset:         16
        .size:           8
        .value_kind:     by_value
      - .offset:         24
        .size:           8
        .value_kind:     by_value
      - .offset:         32
        .size:           8
        .value_kind:     by_value
      - .offset:         40
        .size:           8
        .value_kind:     by_value
      - .actual_access:  read_only
        .address_space:  global
        .offset:         48
        .size:           8
        .value_kind:     global_buffer
      - .actual_access:  read_only
        .address_space:  global
        .offset:         56
        .size:           8
        .value_kind:     global_buffer
      - .address_space:  global
        .offset:         64
        .size:           8
        .value_kind:     global_buffer
      - .address_space:  global
        .offset:         72
        .size:           8
        .value_kind:     global_buffer
      - .offset:         80
        .size:           4
        .value_kind:     by_value
      - .offset:         84
        .size:           4
        .value_kind:     by_value
      - .offset:         88
        .size:           4
        .value_kind:     by_value
      - .offset:         92
        .size:           4
        .value_kind:     by_value
      - .address_space:  global
        .offset:         96
        .size:           8
        .value_kind:     global_buffer
    .group_segment_fixed_size: 0
    .kernarg_segment_align: 8
    .kernarg_segment_size: 104
    .language:       OpenCL C
    .language_version:
      - 2
      - 0
    .max_flat_workgroup_size: 256
    .name:           _ZN9rocsparseL25check_matrix_gebsr_deviceILj256EdllEEv20rocsparse_direction_T2_S2_T1_S2_S2_PKT0_PKS3_PKS2_SA_21rocsparse_index_base_22rocsparse_matrix_type_20rocsparse_fill_mode_23rocsparse_storage_mode_P22rocsparse_data_status_
    .private_segment_fixed_size: 0
    .sgpr_count:     91
    .sgpr_spill_count: 0
    .symbol:         _ZN9rocsparseL25check_matrix_gebsr_deviceILj256EdllEEv20rocsparse_direction_T2_S2_T1_S2_S2_PKT0_PKS3_PKS2_SA_21rocsparse_index_base_22rocsparse_matrix_type_20rocsparse_fill_mode_23rocsparse_storage_mode_P22rocsparse_data_status_.kd
    .uniform_work_group_size: 1
    .uses_dynamic_stack: false
    .vgpr_count:     25
    .vgpr_spill_count: 0
    .wavefront_size: 64
  - .agpr_count:     0
    .args:
      - .offset:         0
        .size:           4
        .value_kind:     by_value
      - .offset:         8
        .size:           8
        .value_kind:     by_value
      - .offset:         16
        .size:           8
        .value_kind:     by_value
      - .offset:         24
        .size:           8
        .value_kind:     by_value
      - .offset:         32
        .size:           8
        .value_kind:     by_value
      - .offset:         40
        .size:           8
        .value_kind:     by_value
      - .actual_access:  read_only
        .address_space:  global
        .offset:         48
        .size:           8
        .value_kind:     global_buffer
      - .actual_access:  read_only
        .address_space:  global
        .offset:         56
        .size:           8
        .value_kind:     global_buffer
      - .address_space:  global
        .offset:         64
        .size:           8
        .value_kind:     global_buffer
      - .address_space:  global
        .offset:         72
        .size:           8
        .value_kind:     global_buffer
      - .offset:         80
        .size:           4
        .value_kind:     by_value
      - .offset:         84
        .size:           4
        .value_kind:     by_value
      - .offset:         88
        .size:           4
        .value_kind:     by_value
      - .offset:         92
        .size:           4
        .value_kind:     by_value
      - .address_space:  global
        .offset:         96
        .size:           8
        .value_kind:     global_buffer
    .group_segment_fixed_size: 0
    .kernarg_segment_align: 8
    .kernarg_segment_size: 104
    .language:       OpenCL C
    .language_version:
      - 2
      - 0
    .max_flat_workgroup_size: 256
    .name:           _ZN9rocsparseL25check_matrix_gebsr_deviceILj256E21rocsparse_complex_numIfEllEEv20rocsparse_direction_T2_S4_T1_S4_S4_PKT0_PKS5_PKS4_SC_21rocsparse_index_base_22rocsparse_matrix_type_20rocsparse_fill_mode_23rocsparse_storage_mode_P22rocsparse_data_status_
    .private_segment_fixed_size: 0
    .sgpr_count:     92
    .sgpr_spill_count: 0
    .symbol:         _ZN9rocsparseL25check_matrix_gebsr_deviceILj256E21rocsparse_complex_numIfEllEEv20rocsparse_direction_T2_S4_T1_S4_S4_PKT0_PKS5_PKS4_SC_21rocsparse_index_base_22rocsparse_matrix_type_20rocsparse_fill_mode_23rocsparse_storage_mode_P22rocsparse_data_status_.kd
    .uniform_work_group_size: 1
    .uses_dynamic_stack: false
    .vgpr_count:     25
    .vgpr_spill_count: 0
    .wavefront_size: 64
  - .agpr_count:     0
    .args:
      - .offset:         0
        .size:           4
        .value_kind:     by_value
      - .offset:         8
        .size:           8
        .value_kind:     by_value
      - .offset:         16
        .size:           8
        .value_kind:     by_value
      - .offset:         24
        .size:           8
        .value_kind:     by_value
      - .offset:         32
        .size:           8
        .value_kind:     by_value
      - .offset:         40
        .size:           8
        .value_kind:     by_value
      - .actual_access:  read_only
        .address_space:  global
        .offset:         48
        .size:           8
        .value_kind:     global_buffer
      - .actual_access:  read_only
        .address_space:  global
        .offset:         56
        .size:           8
        .value_kind:     global_buffer
      - .address_space:  global
        .offset:         64
        .size:           8
        .value_kind:     global_buffer
      - .address_space:  global
        .offset:         72
        .size:           8
        .value_kind:     global_buffer
      - .offset:         80
        .size:           4
        .value_kind:     by_value
      - .offset:         84
        .size:           4
        .value_kind:     by_value
      - .offset:         88
        .size:           4
        .value_kind:     by_value
      - .offset:         92
        .size:           4
        .value_kind:     by_value
      - .address_space:  global
        .offset:         96
        .size:           8
        .value_kind:     global_buffer
    .group_segment_fixed_size: 0
    .kernarg_segment_align: 8
    .kernarg_segment_size: 104
    .language:       OpenCL C
    .language_version:
      - 2
      - 0
    .max_flat_workgroup_size: 256
    .name:           _ZN9rocsparseL25check_matrix_gebsr_deviceILj256E21rocsparse_complex_numIdEllEEv20rocsparse_direction_T2_S4_T1_S4_S4_PKT0_PKS5_PKS4_SC_21rocsparse_index_base_22rocsparse_matrix_type_20rocsparse_fill_mode_23rocsparse_storage_mode_P22rocsparse_data_status_
    .private_segment_fixed_size: 0
    .sgpr_count:     94
    .sgpr_spill_count: 0
    .symbol:         _ZN9rocsparseL25check_matrix_gebsr_deviceILj256E21rocsparse_complex_numIdEllEEv20rocsparse_direction_T2_S4_T1_S4_S4_PKT0_PKS5_PKS4_SC_21rocsparse_index_base_22rocsparse_matrix_type_20rocsparse_fill_mode_23rocsparse_storage_mode_P22rocsparse_data_status_.kd
    .uniform_work_group_size: 1
    .uses_dynamic_stack: false
    .vgpr_count:     27
    .vgpr_spill_count: 0
    .wavefront_size: 64
amdhsa.target:   amdgcn-amd-amdhsa--gfx90a
amdhsa.version:
  - 1
  - 2
...

	.end_amdgpu_metadata
